;; amdgpu-corpus repo=ROCm/rocFFT kind=compiled arch=gfx1201 opt=O3
	.text
	.amdgcn_target "amdgcn-amd-amdhsa--gfx1201"
	.amdhsa_code_object_version 6
	.protected	bluestein_single_back_len325_dim1_dp_op_CI_CI ; -- Begin function bluestein_single_back_len325_dim1_dp_op_CI_CI
	.globl	bluestein_single_back_len325_dim1_dp_op_CI_CI
	.p2align	8
	.type	bluestein_single_back_len325_dim1_dp_op_CI_CI,@function
bluestein_single_back_len325_dim1_dp_op_CI_CI: ; @bluestein_single_back_len325_dim1_dp_op_CI_CI
; %bb.0:
	s_load_b128 s[12:15], s[0:1], 0x28
	v_mul_u32_u24_e32 v1, 0x13b2, v0
	v_mov_b32_e32 v7, 0
	s_mov_b32 s2, exec_lo
	s_delay_alu instid0(VALU_DEP_2) | instskip(NEXT) | instid1(VALU_DEP_1)
	v_lshrrev_b32_e32 v5, 16, v1
	v_lshl_add_u32 v6, ttmp9, 2, v5
	s_wait_kmcnt 0x0
	s_delay_alu instid0(VALU_DEP_1)
	v_cmpx_gt_u64_e64 s[12:13], v[6:7]
	s_cbranch_execz .LBB0_15
; %bb.1:
	s_clause 0x1
	s_load_b128 s[4:7], s[0:1], 0x18
	s_load_b64 s[12:13], s[0:1], 0x0
	v_mul_lo_u16 v1, v5, 13
	v_and_b32_e32 v5, 3, v5
	v_mov_b32_e32 v7, v6
	s_delay_alu instid0(VALU_DEP_3) | instskip(NEXT) | instid1(VALU_DEP_3)
	v_sub_nc_u16 v4, v0, v1
	v_mul_u32_u24_e32 v5, 0x145, v5
	scratch_store_b64 off, v[7:8], off offset:28 ; 8-byte Folded Spill
	v_and_b32_e32 v110, 0xffff, v4
	v_lshlrev_b32_e32 v230, 4, v5
	s_wait_kmcnt 0x0
	s_load_b128 s[8:11], s[4:5], 0x0
	s_wait_kmcnt 0x0
	v_mad_co_u64_u32 v[0:1], null, s10, v6, 0
	v_mad_co_u64_u32 v[2:3], null, s8, v110, 0
	s_mul_u64 s[2:3], s[8:9], 25
	s_delay_alu instid0(VALU_DEP_1) | instskip(NEXT) | instid1(VALU_DEP_2)
	v_mad_co_u64_u32 v[6:7], null, s11, v6, v[1:2]
	v_mad_co_u64_u32 v[7:8], null, s9, v110, v[3:4]
	s_delay_alu instid0(VALU_DEP_2)
	v_dual_mov_b32 v1, v6 :: v_dual_lshlrev_b32 v248, 4, v110
	s_clause 0x1
	global_load_b128 v[143:146], v248, s[12:13]
	global_load_b128 v[147:150], v248, s[12:13] offset:400
	v_mov_b32_e32 v3, v7
	s_clause 0x5
	global_load_b128 v[111:114], v248, s[12:13] offset:800
	global_load_b128 v[115:118], v248, s[12:13] offset:1200
	;; [unrolled: 1-line block ×6, first 2 shown]
	v_lshlrev_b64_e32 v[0:1], 4, v[0:1]
	s_clause 0x1
	global_load_b128 v[135:138], v248, s[12:13] offset:3200
	global_load_b128 v[139:142], v248, s[12:13] offset:3600
	v_lshlrev_b64_e32 v[6:7], 4, v[2:3]
	v_add_co_u32 v2, vcc_lo, s14, v0
	v_add_co_ci_u32_e32 v3, vcc_lo, s15, v1, vcc_lo
	s_lshl_b64 s[14:15], s[2:3], 4
	s_delay_alu instid0(VALU_DEP_2) | instskip(SKIP_1) | instid1(VALU_DEP_2)
	v_add_co_u32 v0, vcc_lo, v2, v6
	s_wait_alu 0xfffd
	v_add_co_ci_u32_e32 v1, vcc_lo, v3, v7, vcc_lo
	s_wait_alu 0xfffe
	s_delay_alu instid0(VALU_DEP_2) | instskip(SKIP_1) | instid1(VALU_DEP_2)
	v_add_co_u32 v10, vcc_lo, v0, s14
	s_wait_alu 0xfffd
	v_add_co_ci_u32_e32 v11, vcc_lo, s15, v1, vcc_lo
	s_delay_alu instid0(VALU_DEP_2) | instskip(SKIP_1) | instid1(VALU_DEP_2)
	v_add_co_u32 v14, vcc_lo, v10, s14
	s_wait_alu 0xfffd
	v_add_co_ci_u32_e32 v15, vcc_lo, s15, v11, vcc_lo
	s_clause 0x1
	global_load_b128 v[6:9], v[0:1], off
	global_load_b128 v[10:13], v[10:11], off
	v_add_co_u32 v18, vcc_lo, v14, s14
	s_wait_alu 0xfffd
	v_add_co_ci_u32_e32 v19, vcc_lo, s15, v15, vcc_lo
	s_delay_alu instid0(VALU_DEP_2) | instskip(SKIP_1) | instid1(VALU_DEP_2)
	v_add_co_u32 v0, vcc_lo, v18, s14
	s_wait_alu 0xfffd
	v_add_co_ci_u32_e32 v1, vcc_lo, s15, v19, vcc_lo
	s_clause 0x1
	global_load_b128 v[14:17], v[14:15], off
	global_load_b128 v[18:21], v[18:19], off
	v_add_co_u32 v26, vcc_lo, v0, s14
	s_wait_alu 0xfffd
	v_add_co_ci_u32_e32 v27, vcc_lo, s15, v1, vcc_lo
	global_load_b128 v[22:25], v[0:1], off
	v_add_co_u32 v0, vcc_lo, v26, s14
	s_wait_alu 0xfffd
	v_add_co_ci_u32_e32 v1, vcc_lo, s15, v27, vcc_lo
	;; [unrolled: 4-line block ×8, first 2 shown]
	s_clause 0x1
	global_load_b128 v[159:162], v248, s[12:13] offset:4000
	global_load_b128 v[155:158], v248, s[12:13] offset:4400
	global_load_b128 v[50:53], v[50:51], off
	global_load_b128 v[151:154], v248, s[12:13] offset:4800
	global_load_b128 v[54:57], v[0:1], off
	v_cmp_gt_u16_e32 vcc_lo, 12, v4
	v_or_b32_e32 v4, 0x120, v110
	s_wait_loadcnt 0x17
	scratch_store_b128 off, v[111:114], off offset:36 ; 16-byte Folded Spill
	s_wait_loadcnt 0x16
	s_clause 0x2
	scratch_store_b128 off, v[115:118], off offset:52
	scratch_store_b128 off, v[143:146], off offset:164
	;; [unrolled: 1-line block ×3, first 2 shown]
	s_wait_loadcnt 0x15
	scratch_store_b128 off, v[119:122], off offset:68 ; 16-byte Folded Spill
	s_wait_loadcnt 0x14
	scratch_store_b128 off, v[123:126], off offset:84 ; 16-byte Folded Spill
	;; [unrolled: 2-line block ×6, first 2 shown]
	s_wait_loadcnt 0xf
	v_mul_f64_e32 v[58:59], v[8:9], v[145:146]
	v_mul_f64_e32 v[60:61], v[6:7], v[145:146]
	s_wait_loadcnt 0xe
	v_mul_f64_e32 v[62:63], v[12:13], v[149:150]
	v_mul_f64_e32 v[64:65], v[10:11], v[149:150]
	;; [unrolled: 3-line block ×9, first 2 shown]
	v_fma_f64 v[6:7], v[6:7], v[143:144], v[58:59]
	v_fma_f64 v[8:9], v[8:9], v[143:144], -v[60:61]
	v_fma_f64 v[10:11], v[10:11], v[147:148], v[62:63]
	s_wait_loadcnt 0x6
	v_mul_f64_e32 v[94:95], v[44:45], v[141:142]
	v_mul_f64_e32 v[96:97], v[42:43], v[141:142]
	v_fma_f64 v[12:13], v[12:13], v[147:148], -v[64:65]
	v_add_co_u32 v58, s2, s12, v248
	s_delay_alu instid0(VALU_DEP_1)
	v_add_co_ci_u32_e64 v59, null, s13, 0, s2
	s_wait_loadcnt 0x4
	v_mul_f64_e32 v[98:99], v[48:49], v[161:162]
	v_mul_f64_e32 v[100:101], v[46:47], v[161:162]
	s_wait_loadcnt 0x2
	v_mul_f64_e32 v[102:103], v[52:53], v[157:158]
	v_mul_f64_e32 v[104:105], v[50:51], v[157:158]
	;; [unrolled: 3-line block ×3, first 2 shown]
	v_fma_f64 v[14:15], v[14:15], v[111:112], v[66:67]
	v_fma_f64 v[16:17], v[16:17], v[111:112], -v[68:69]
	v_fma_f64 v[18:19], v[18:19], v[115:116], v[70:71]
	v_fma_f64 v[20:21], v[20:21], v[115:116], -v[72:73]
	;; [unrolled: 2-line block ×4, first 2 shown]
	s_clause 0x2
	scratch_store_b128 off, v[159:162], off offset:228
	scratch_store_b128 off, v[155:158], off offset:212
	;; [unrolled: 1-line block ×3, first 2 shown]
	v_fma_f64 v[30:31], v[30:31], v[127:128], v[82:83]
	v_fma_f64 v[32:33], v[32:33], v[127:128], -v[84:85]
	s_load_b64 s[10:11], s[0:1], 0x38
	s_load_b128 s[4:7], s[6:7], 0x0
	scratch_store_b64 off, v[58:59], off offset:4 ; 8-byte Folded Spill
	v_fma_f64 v[34:35], v[34:35], v[131:132], v[86:87]
	v_fma_f64 v[36:37], v[36:37], v[131:132], -v[88:89]
	v_fma_f64 v[38:39], v[38:39], v[135:136], v[90:91]
	v_fma_f64 v[40:41], v[40:41], v[135:136], -v[92:93]
	;; [unrolled: 2-line block ×6, first 2 shown]
	v_add_nc_u32_e32 v156, v230, v248
	ds_store_b128 v156, v[6:9]
	ds_store_b128 v156, v[10:13] offset:400
	ds_store_b128 v156, v[14:17] offset:800
	;; [unrolled: 1-line block ×7, first 2 shown]
	s_clause 0x1
	scratch_store_b32 off, v110, off
	scratch_store_b32 off, v4, off offset:556
	ds_store_b128 v156, v[38:41] offset:3200
	ds_store_b128 v156, v[42:45] offset:3600
	ds_store_b128 v156, v[46:49] offset:4000
	ds_store_b128 v156, v[50:53] offset:4400
	ds_store_b128 v156, v[54:57] offset:4800
	s_and_saveexec_b32 s3, vcc_lo
	s_cbranch_execz .LBB0_3
; %bb.2:
	scratch_load_b64 v[96:97], off, off offset:4 ; 8-byte Folded Reload
	v_mad_co_u64_u32 v[0:1], null, 0xffffee10, s8, v[0:1]
	s_mul_i32 s2, s9, 0xffffee10
	s_wait_loadcnt 0x0
	s_clause 0x1
	global_load_b128 v[4:7], v[96:97], off offset:208
	global_load_b128 v[8:11], v[96:97], off offset:608
	scratch_load_b32 v12, off, off          ; 4-byte Folded Reload
	s_wait_alu 0xfffe
	s_sub_co_i32 s2, s2, s8
	s_wait_loadcnt 0x0
	v_or_b32_e32 v21, 0x120, v12
	s_clause 0x1
	global_load_b128 v[12:15], v[96:97], off offset:1008
	global_load_b128 v[16:19], v[96:97], off offset:1408
	v_mad_co_u64_u32 v[32:33], null, s8, v21, 0
	s_wait_alu 0xfffe
	v_add_nc_u32_e32 v1, s2, v1
	v_add_co_u32 v36, s2, v0, s14
	s_delay_alu instid0(VALU_DEP_3) | instskip(SKIP_1) | instid1(VALU_DEP_3)
	v_mov_b32_e32 v20, v33
	s_wait_alu 0xf1ff
	v_add_co_ci_u32_e64 v37, s2, s15, v1, s2
	s_delay_alu instid0(VALU_DEP_3) | instskip(NEXT) | instid1(VALU_DEP_3)
	v_add_co_u32 v40, s2, v36, s14
	v_mad_co_u64_u32 v[28:29], null, s9, v21, v[20:21]
	s_wait_alu 0xf1ff
	s_delay_alu instid0(VALU_DEP_3) | instskip(NEXT) | instid1(VALU_DEP_3)
	v_add_co_ci_u32_e64 v41, s2, s15, v37, s2
	v_add_co_u32 v42, s2, v40, s14
	s_clause 0x1
	global_load_b128 v[20:23], v[96:97], off offset:1808
	global_load_b128 v[24:27], v[96:97], off offset:2208
	s_wait_alu 0xf1ff
	v_add_co_ci_u32_e64 v43, s2, s15, v41, s2
	v_add_co_u32 v44, s2, v42, s14
	global_load_b128 v[36:39], v[36:37], off
	s_wait_alu 0xf1ff
	v_add_co_ci_u32_e64 v45, s2, s15, v43, s2
	v_add_co_u32 v52, s2, v44, s14
	s_wait_alu 0xf1ff
	s_delay_alu instid0(VALU_DEP_2) | instskip(NEXT) | instid1(VALU_DEP_2)
	v_add_co_ci_u32_e64 v53, s2, s15, v45, s2
	v_add_co_u32 v64, s2, v52, s14
	s_wait_alu 0xf1ff
	s_delay_alu instid0(VALU_DEP_2) | instskip(NEXT) | instid1(VALU_DEP_2)
	;; [unrolled: 4-line block ×5, first 2 shown]
	v_add_co_ci_u32_e64 v85, s2, s15, v81, s2
	v_add_co_u32 v92, s2, v84, s14
	s_wait_alu 0xf1ff
	s_delay_alu instid0(VALU_DEP_2) | instskip(NEXT) | instid1(VALU_DEP_1)
	v_add_co_ci_u32_e64 v93, s2, s15, v85, s2
	v_mad_co_u64_u32 v[100:101], null, 0x320, s8, v[92:93]
	v_mov_b32_e32 v33, v28
	global_load_b128 v[28:31], v[96:97], off offset:4608
	v_mov_b32_e32 v56, v101
	v_lshlrev_b64_e32 v[46:47], 4, v[32:33]
	global_load_b128 v[32:35], v[0:1], off
	v_mad_co_u64_u32 v[86:87], null, 0x320, s9, v[56:57]
	v_add_co_u32 v48, s2, v2, v46
	s_wait_alu 0xf1ff
	v_add_co_ci_u32_e64 v49, s2, v3, v47, s2
	global_load_b128 v[0:3], v[40:41], off
	global_load_b128 v[40:43], v[42:43], off
	;; [unrolled: 1-line block ×5, first 2 shown]
	s_clause 0x1
	global_load_b128 v[56:59], v[96:97], off offset:2608
	global_load_b128 v[60:63], v[96:97], off offset:3008
	global_load_b128 v[64:67], v[64:65], off
	global_load_b128 v[68:71], v[68:69], off
	s_clause 0x1
	global_load_b128 v[72:75], v[96:97], off offset:3408
	global_load_b128 v[76:79], v[96:97], off offset:3808
	global_load_b128 v[80:83], v[80:81], off
	v_mov_b32_e32 v101, v86
	global_load_b128 v[84:87], v[84:85], off
	global_load_b128 v[88:91], v[96:97], off offset:4208
	global_load_b128 v[92:95], v[92:93], off
	global_load_b128 v[96:99], v[96:97], off offset:5008
	global_load_b128 v[100:103], v[100:101], off
	s_wait_loadcnt 0x13
	v_mul_f64_e32 v[106:107], v[38:39], v[10:11]
	v_mul_f64_e32 v[10:11], v[36:37], v[10:11]
	s_wait_loadcnt 0x11
	v_mul_f64_e32 v[104:105], v[34:35], v[6:7]
	v_mul_f64_e32 v[6:7], v[32:33], v[6:7]
	;; [unrolled: 3-line block ×10, first 2 shown]
	v_mul_f64_e32 v[114:115], v[50:51], v[30:31]
	s_wait_loadcnt 0x2
	v_mul_f64_e32 v[128:129], v[94:95], v[90:91]
	v_mul_f64_e32 v[90:91], v[92:93], v[90:91]
	;; [unrolled: 1-line block ×3, first 2 shown]
	s_wait_loadcnt 0x0
	v_mul_f64_e32 v[130:131], v[102:103], v[98:99]
	v_mul_f64_e32 v[98:99], v[100:101], v[98:99]
	v_fma_f64 v[30:31], v[32:33], v[4:5], v[104:105]
	v_fma_f64 v[32:33], v[34:35], v[4:5], -v[6:7]
	v_fma_f64 v[4:5], v[36:37], v[8:9], v[106:107]
	v_fma_f64 v[6:7], v[38:39], v[8:9], -v[10:11]
	;; [unrolled: 2-line block ×10, first 2 shown]
	v_fma_f64 v[16:17], v[48:49], v[28:29], v[114:115]
	v_fma_f64 v[46:47], v[92:93], v[88:89], v[128:129]
	v_fma_f64 v[48:49], v[94:95], v[88:89], -v[90:91]
	v_fma_f64 v[18:19], v[50:51], v[28:29], -v[116:117]
	v_fma_f64 v[50:51], v[100:101], v[96:97], v[130:131]
	v_fma_f64 v[52:53], v[102:103], v[96:97], -v[98:99]
	ds_store_b128 v156, v[30:33] offset:208
	ds_store_b128 v156, v[4:7] offset:608
	;; [unrolled: 1-line block ×13, first 2 shown]
.LBB0_3:
	s_wait_alu 0xfffe
	s_or_b32 exec_lo, exec_lo, s3
	global_wb scope:SCOPE_SE
	s_wait_storecnt_dscnt 0x0
	s_wait_kmcnt 0x0
	s_barrier_signal -1
	s_barrier_wait -1
	global_inv scope:SCOPE_SE
	ds_load_b128 v[52:55], v156
	ds_load_b128 v[112:115], v156 offset:400
	ds_load_b128 v[116:119], v156 offset:800
	;; [unrolled: 1-line block ×12, first 2 shown]
	s_load_b64 s[0:1], s[0:1], 0x8
                                        ; implicit-def: $vgpr72_vgpr73
                                        ; implicit-def: $vgpr92_vgpr93
                                        ; implicit-def: $vgpr96_vgpr97
                                        ; implicit-def: $vgpr104_vgpr105
                                        ; implicit-def: $vgpr100_vgpr101
                                        ; implicit-def: $vgpr88_vgpr89
                                        ; implicit-def: $vgpr84_vgpr85
                                        ; implicit-def: $vgpr80_vgpr81
                                        ; implicit-def: $vgpr76_vgpr77
                                        ; implicit-def: $vgpr68_vgpr69
                                        ; implicit-def: $vgpr64_vgpr65
                                        ; implicit-def: $vgpr60_vgpr61
                                        ; implicit-def: $vgpr56_vgpr57
	s_and_saveexec_b32 s2, vcc_lo
	s_cbranch_execz .LBB0_5
; %bb.4:
	ds_load_b128 v[72:75], v156 offset:208
	ds_load_b128 v[92:95], v156 offset:608
	;; [unrolled: 1-line block ×13, first 2 shown]
.LBB0_5:
	s_wait_alu 0xfffe
	s_or_b32 exec_lo, exec_lo, s2
	s_wait_dscnt 0xb
	v_add_f64_e32 v[0:1], v[52:53], v[112:113]
	v_add_f64_e32 v[2:3], v[54:55], v[114:115]
	s_wait_dscnt 0x0
	v_add_f64_e64 v[44:45], v[114:115], -v[110:111]
	s_mov_b32 s22, 0x4267c47c
	s_mov_b32 s30, 0x42a4c3d2
	;; [unrolled: 1-line block ×12, first 2 shown]
	v_add_f64_e32 v[36:37], v[116:117], v[124:125]
	v_add_f64_e32 v[38:39], v[118:119], v[126:127]
	v_add_f64_e64 v[40:41], v[116:117], -v[124:125]
	v_add_f64_e64 v[42:43], v[118:119], -v[126:127]
	v_add_f64_e32 v[46:47], v[112:113], v[108:109]
	v_add_f64_e32 v[48:49], v[114:115], v[110:111]
	v_add_f64_e64 v[50:51], v[112:113], -v[108:109]
	s_mov_b32 s20, 0xe00740e9
	s_mov_b32 s16, 0x1ea71119
	s_mov_b32 s18, 0xebaa3ed8
	s_mov_b32 s14, 0xb2365da1
	s_mov_b32 s8, 0xd0032e0c
	s_mov_b32 s2, 0x93053d00
	s_mov_b32 s21, 0x3fec55a7
	s_mov_b32 s17, 0x3fe22d96
	s_mov_b32 s19, 0x3fbedb7d
	s_mov_b32 s15, 0xbfd6b1d8
	s_mov_b32 s9, 0xbfe7f3cc
	s_mov_b32 s3, 0xbfef11f4
	v_add_f64_e32 v[20:21], v[132:133], v[136:137]
	v_add_f64_e32 v[22:23], v[134:135], v[138:139]
	v_add_f64_e64 v[24:25], v[132:133], -v[136:137]
	v_add_f64_e64 v[26:27], v[134:135], -v[138:139]
	v_add_f64_e32 v[0:1], v[0:1], v[116:117]
	v_add_f64_e32 v[2:3], v[2:3], v[118:119]
	v_mul_f64_e32 v[112:113], s[26:27], v[44:45]
	v_add_f64_e32 v[28:29], v[120:121], v[128:129]
	v_add_f64_e32 v[30:31], v[122:123], v[130:131]
	v_add_f64_e64 v[32:33], v[120:121], -v[128:129]
	v_add_f64_e64 v[34:35], v[122:123], -v[130:131]
	;; [unrolled: 1-line block ×3, first 2 shown]
	v_add_f64_e32 v[8:9], v[152:153], v[148:149]
	v_add_f64_e32 v[12:13], v[140:141], v[144:145]
	;; [unrolled: 1-line block ×3, first 2 shown]
	v_add_f64_e64 v[16:17], v[140:141], -v[144:145]
	v_add_f64_e64 v[18:19], v[142:143], -v[146:147]
	v_add_f64_e64 v[6:7], v[154:155], -v[150:151]
	v_add_f64_e32 v[10:11], v[154:155], v[150:151]
	s_mov_b32 s37, 0x3fe5384d
	s_mov_b32 s36, s26
	;; [unrolled: 1-line block ×6, first 2 shown]
	v_mul_f64_e32 v[174:175], s[34:35], v[40:41]
	s_mov_b32 s39, 0x3fedeba7
	s_mov_b32 s38, s28
	v_mul_f64_e32 v[170:171], s[36:37], v[42:43]
	v_mul_f64_e32 v[198:199], s[36:37], v[40:41]
	s_mov_b32 s43, 0x3fcea1e5
	s_mov_b32 s42, s34
	;; [unrolled: 1-line block ×4, first 2 shown]
	v_mul_f64_e32 v[166:167], s[40:41], v[42:43]
	v_mul_f64_e32 v[214:215], s[40:41], v[40:41]
	;; [unrolled: 1-line block ×4, first 2 shown]
	v_add_f64_e32 v[0:1], v[0:1], v[120:121]
	v_add_f64_e32 v[2:3], v[2:3], v[122:123]
	s_wait_alu 0xfffe
	v_fma_f64 v[122:123], v[46:47], s[8:9], -v[112:113]
	v_fma_f64 v[112:113], v[46:47], s[8:9], v[112:113]
	v_mul_f64_e32 v[190:191], s[44:45], v[24:25]
	v_mul_f64_e32 v[186:187], s[38:39], v[32:33]
	;; [unrolled: 1-line block ×25, first 2 shown]
	v_add_f64_e32 v[0:1], v[0:1], v[132:133]
	v_add_f64_e32 v[2:3], v[2:3], v[134:135]
	v_mul_f64_e32 v[132:133], s[24:25], v[50:51]
	v_mul_f64_e32 v[134:135], s[28:29], v[50:51]
	v_add_f64_e32 v[122:123], v[52:53], v[122:123]
	v_add_f64_e32 v[112:113], v[52:53], v[112:113]
	;; [unrolled: 1-line block ×4, first 2 shown]
	v_fma_f64 v[142:143], v[48:49], s[18:19], v[132:133]
	v_fma_f64 v[132:133], v[48:49], s[18:19], -v[132:133]
	s_delay_alu instid0(VALU_DEP_4) | instskip(NEXT) | instid1(VALU_DEP_4)
	v_add_f64_e32 v[0:1], v[0:1], v[152:153]
	v_add_f64_e32 v[2:3], v[2:3], v[154:155]
	s_delay_alu instid0(VALU_DEP_3) | instskip(SKIP_1) | instid1(VALU_DEP_4)
	v_add_f64_e32 v[172:173], v[54:55], v[132:133]
	v_mul_f64_e32 v[132:133], s[24:25], v[34:35]
	v_add_f64_e32 v[0:1], v[0:1], v[148:149]
	s_delay_alu instid0(VALU_DEP_4) | instskip(NEXT) | instid1(VALU_DEP_2)
	v_add_f64_e32 v[2:3], v[2:3], v[150:151]
	v_add_f64_e32 v[0:1], v[0:1], v[144:145]
	s_delay_alu instid0(VALU_DEP_2) | instskip(SKIP_2) | instid1(VALU_DEP_4)
	v_add_f64_e32 v[2:3], v[2:3], v[146:147]
	v_fma_f64 v[144:145], v[48:49], s[14:15], v[134:135]
	v_fma_f64 v[134:135], v[48:49], s[14:15], -v[134:135]
	v_add_f64_e32 v[0:1], v[0:1], v[136:137]
	s_delay_alu instid0(VALU_DEP_4)
	v_add_f64_e32 v[2:3], v[2:3], v[138:139]
	v_mul_f64_e32 v[136:137], s[26:27], v[50:51]
	v_add_f64_e32 v[144:145], v[54:55], v[144:145]
	v_add_f64_e32 v[168:169], v[54:55], v[134:135]
	v_mul_f64_e32 v[134:135], s[24:25], v[32:33]
	v_add_f64_e32 v[0:1], v[0:1], v[128:129]
	v_add_f64_e32 v[2:3], v[2:3], v[130:131]
	v_mul_f64_e32 v[130:131], s[30:31], v[50:51]
	v_fma_f64 v[146:147], v[48:49], s[8:9], v[136:137]
	v_fma_f64 v[136:137], v[48:49], s[8:9], -v[136:137]
	v_add_f64_e32 v[0:1], v[0:1], v[124:125]
	v_add_f64_e32 v[2:3], v[2:3], v[126:127]
	v_fma_f64 v[140:141], v[48:49], s[16:17], v[130:131]
	v_fma_f64 v[130:131], v[48:49], s[16:17], -v[130:131]
	v_add_f64_e32 v[150:151], v[54:55], v[146:147]
	v_add_f64_e32 v[164:165], v[54:55], v[136:137]
	v_mul_f64_e32 v[136:137], s[28:29], v[26:27]
	v_mul_f64_e32 v[146:147], s[26:27], v[18:19]
	;; [unrolled: 1-line block ×3, first 2 shown]
	v_add_f64_e32 v[124:125], v[0:1], v[108:109]
	v_add_f64_e32 v[126:127], v[2:3], v[110:111]
	v_mul_f64_e32 v[0:1], s[22:23], v[44:45]
	v_mul_f64_e32 v[2:3], s[30:31], v[44:45]
	;; [unrolled: 1-line block ×5, first 2 shown]
	v_add_f64_e32 v[157:158], v[54:55], v[130:131]
	v_fma_f64 v[114:115], v[46:47], s[20:21], -v[0:1]
	v_fma_f64 v[0:1], v[46:47], s[20:21], v[0:1]
	v_fma_f64 v[116:117], v[46:47], s[16:17], -v[2:3]
	v_fma_f64 v[2:3], v[46:47], s[16:17], v[2:3]
	;; [unrolled: 2-line block ×5, first 2 shown]
	v_mul_f64_e32 v[46:47], s[22:23], v[50:51]
	v_mul_f64_e32 v[50:51], s[34:35], v[50:51]
	v_add_f64_e32 v[0:1], v[52:53], v[0:1]
	v_add_f64_e32 v[116:117], v[52:53], v[116:117]
	;; [unrolled: 1-line block ×9, first 2 shown]
	v_fma_f64 v[138:139], v[48:49], s[20:21], v[46:47]
	v_fma_f64 v[46:47], v[48:49], s[20:21], -v[46:47]
	v_fma_f64 v[148:149], v[48:49], s[2:3], v[50:51]
	v_fma_f64 v[48:49], v[48:49], s[2:3], -v[50:51]
	v_add_f64_e32 v[50:51], v[52:53], v[114:115]
	v_mul_f64_e32 v[52:53], s[30:31], v[42:43]
	v_add_f64_e32 v[114:115], v[54:55], v[138:139]
	v_add_f64_e32 v[46:47], v[54:55], v[46:47]
	;; [unrolled: 1-line block ×6, first 2 shown]
	v_fma_f64 v[54:55], v[36:37], s[16:17], -v[52:53]
	v_fma_f64 v[52:53], v[36:37], s[16:17], v[52:53]
	v_mul_f64_e32 v[142:143], s[28:29], v[24:25]
	v_mul_f64_e32 v[148:149], s[26:27], v[16:17]
	;; [unrolled: 1-line block ×4, first 2 shown]
	v_add_f64_e32 v[50:51], v[54:55], v[50:51]
	v_mul_f64_e32 v[54:55], s[30:31], v[40:41]
	v_add_f64_e32 v[0:1], v[52:53], v[0:1]
	s_delay_alu instid0(VALU_DEP_2) | instskip(SKIP_3) | instid1(VALU_DEP_4)
	v_fma_f64 v[128:129], v[38:39], s[16:17], v[54:55]
	v_fma_f64 v[52:53], v[38:39], s[16:17], -v[54:55]
	v_mul_f64_e32 v[54:55], s[34:35], v[34:35]
	v_mul_f64_e32 v[34:35], s[26:27], v[34:35]
	v_add_f64_e32 v[114:115], v[128:129], v[114:115]
	v_fma_f64 v[128:129], v[28:29], s[18:19], -v[132:133]
	v_add_f64_e32 v[46:47], v[52:53], v[46:47]
	v_fma_f64 v[52:53], v[28:29], s[18:19], v[132:133]
	s_delay_alu instid0(VALU_DEP_3) | instskip(SKIP_1) | instid1(VALU_DEP_3)
	v_add_f64_e32 v[50:51], v[128:129], v[50:51]
	v_fma_f64 v[128:129], v[30:31], s[18:19], v[134:135]
	v_add_f64_e32 v[0:1], v[52:53], v[0:1]
	v_fma_f64 v[52:53], v[30:31], s[18:19], -v[134:135]
	s_delay_alu instid0(VALU_DEP_3) | instskip(SKIP_1) | instid1(VALU_DEP_3)
	v_add_f64_e32 v[114:115], v[128:129], v[114:115]
	v_fma_f64 v[128:129], v[20:21], s[14:15], -v[136:137]
	v_add_f64_e32 v[46:47], v[52:53], v[46:47]
	v_fma_f64 v[52:53], v[20:21], s[14:15], v[136:137]
	s_delay_alu instid0(VALU_DEP_3) | instskip(SKIP_1) | instid1(VALU_DEP_3)
	v_add_f64_e32 v[50:51], v[128:129], v[50:51]
	v_fma_f64 v[128:129], v[22:23], s[14:15], v[142:143]
	v_add_f64_e32 v[0:1], v[52:53], v[0:1]
	v_fma_f64 v[52:53], v[22:23], s[14:15], -v[142:143]
	s_delay_alu instid0(VALU_DEP_3) | instskip(SKIP_1) | instid1(VALU_DEP_3)
	;; [unrolled: 10-line block ×3, first 2 shown]
	v_add_f64_e32 v[114:115], v[128:129], v[114:115]
	v_fma_f64 v[128:129], v[8:9], s[2:3], -v[159:160]
	v_add_f64_e32 v[46:47], v[52:53], v[46:47]
	v_fma_f64 v[52:53], v[8:9], s[2:3], v[159:160]
	s_delay_alu instid0(VALU_DEP_3) | instskip(SKIP_1) | instid1(VALU_DEP_3)
	v_add_f64_e32 v[128:129], v[128:129], v[50:51]
	v_mul_f64_e32 v[50:51], s[34:35], v[4:5]
	v_add_f64_e32 v[132:133], v[52:53], v[0:1]
	v_mul_f64_e32 v[0:1], s[28:29], v[42:43]
	s_delay_alu instid0(VALU_DEP_3) | instskip(SKIP_1) | instid1(VALU_DEP_2)
	v_fma_f64 v[130:131], v[10:11], s[2:3], v[50:51]
	v_fma_f64 v[50:51], v[10:11], s[2:3], -v[50:51]
	v_add_f64_e32 v[130:131], v[130:131], v[114:115]
	s_delay_alu instid0(VALU_DEP_2)
	v_add_f64_e32 v[134:135], v[50:51], v[46:47]
	v_fma_f64 v[46:47], v[36:37], s[14:15], -v[0:1]
	v_mul_f64_e32 v[50:51], s[28:29], v[40:41]
	v_fma_f64 v[114:115], v[28:29], s[2:3], -v[54:55]
	v_mul_f64_e32 v[40:41], s[44:45], v[40:41]
	v_fma_f64 v[0:1], v[36:37], s[14:15], v[0:1]
	v_add_f64_e32 v[46:47], v[46:47], v[116:117]
	v_fma_f64 v[52:53], v[38:39], s[14:15], v[50:51]
	s_delay_alu instid0(VALU_DEP_3) | instskip(NEXT) | instid1(VALU_DEP_3)
	v_add_f64_e32 v[0:1], v[0:1], v[2:3]
	v_add_f64_e32 v[46:47], v[114:115], v[46:47]
	v_mul_f64_e32 v[114:115], s[34:35], v[32:33]
	s_delay_alu instid0(VALU_DEP_4) | instskip(SKIP_1) | instid1(VALU_DEP_3)
	v_add_f64_e32 v[52:53], v[52:53], v[138:139]
	v_mul_f64_e32 v[32:33], s[26:27], v[32:33]
	v_fma_f64 v[116:117], v[30:31], s[2:3], v[114:115]
	s_delay_alu instid0(VALU_DEP_1) | instskip(SKIP_2) | instid1(VALU_DEP_2)
	v_add_f64_e32 v[52:53], v[116:117], v[52:53]
	v_mul_f64_e32 v[116:117], s[36:37], v[26:27]
	v_mul_f64_e32 v[26:27], s[46:47], v[26:27]
	v_fma_f64 v[136:137], v[20:21], s[8:9], -v[116:117]
	s_delay_alu instid0(VALU_DEP_1) | instskip(SKIP_1) | instid1(VALU_DEP_1)
	v_add_f64_e32 v[46:47], v[136:137], v[46:47]
	v_fma_f64 v[136:137], v[22:23], s[8:9], v[176:177]
	v_add_f64_e32 v[52:53], v[136:137], v[52:53]
	v_fma_f64 v[136:137], v[12:13], s[18:19], -v[178:179]
	s_delay_alu instid0(VALU_DEP_1) | instskip(SKIP_1) | instid1(VALU_DEP_1)
	v_add_f64_e32 v[46:47], v[136:137], v[46:47]
	v_fma_f64 v[136:137], v[14:15], s[18:19], v[180:181]
	v_add_f64_e32 v[52:53], v[136:137], v[52:53]
	v_fma_f64 v[136:137], v[8:9], s[20:21], -v[182:183]
	s_delay_alu instid0(VALU_DEP_1) | instskip(SKIP_1) | instid1(VALU_DEP_1)
	v_add_f64_e32 v[136:137], v[136:137], v[46:47]
	v_mul_f64_e32 v[46:47], s[44:45], v[4:5]
	v_fma_f64 v[138:139], v[10:11], s[20:21], v[46:47]
	s_delay_alu instid0(VALU_DEP_1) | instskip(SKIP_2) | instid1(VALU_DEP_2)
	v_add_f64_e32 v[138:139], v[138:139], v[52:53]
	v_mul_f64_e32 v[52:53], s[34:35], v[42:43]
	v_mul_f64_e32 v[42:43], s[44:45], v[42:43]
	v_fma_f64 v[142:143], v[36:37], s[2:3], -v[52:53]
	s_delay_alu instid0(VALU_DEP_1) | instskip(SKIP_1) | instid1(VALU_DEP_1)
	v_add_f64_e32 v[118:119], v[142:143], v[118:119]
	v_fma_f64 v[142:143], v[38:39], s[2:3], v[174:175]
	v_add_f64_e32 v[140:141], v[142:143], v[140:141]
	v_fma_f64 v[142:143], v[28:29], s[14:15], -v[184:185]
	s_delay_alu instid0(VALU_DEP_1) | instskip(SKIP_1) | instid1(VALU_DEP_1)
	v_add_f64_e32 v[118:119], v[142:143], v[118:119]
	v_fma_f64 v[142:143], v[30:31], s[14:15], v[186:187]
	v_add_f64_e32 v[140:141], v[142:143], v[140:141]
	v_fma_f64 v[142:143], v[20:21], s[20:21], -v[188:189]
	s_delay_alu instid0(VALU_DEP_1) | instskip(SKIP_1) | instid1(VALU_DEP_1)
	v_add_f64_e32 v[118:119], v[142:143], v[118:119]
	v_fma_f64 v[142:143], v[22:23], s[20:21], v[190:191]
	v_add_f64_e32 v[140:141], v[142:143], v[140:141]
	v_fma_f64 v[142:143], v[12:13], s[16:17], -v[192:193]
	s_delay_alu instid0(VALU_DEP_1) | instskip(SKIP_1) | instid1(VALU_DEP_1)
	v_add_f64_e32 v[118:119], v[142:143], v[118:119]
	v_fma_f64 v[142:143], v[14:15], s[16:17], v[194:195]
	v_add_f64_e32 v[142:143], v[142:143], v[140:141]
	v_fma_f64 v[140:141], v[8:9], s[8:9], -v[196:197]
	s_delay_alu instid0(VALU_DEP_1) | instskip(SKIP_1) | instid1(VALU_DEP_1)
	v_add_f64_e32 v[140:141], v[140:141], v[118:119]
	v_mul_f64_e32 v[118:119], s[26:27], v[4:5]
	v_fma_f64 v[146:147], v[10:11], s[8:9], v[118:119]
	s_delay_alu instid0(VALU_DEP_1) | instskip(SKIP_1) | instid1(VALU_DEP_1)
	v_add_f64_e32 v[142:143], v[146:147], v[142:143]
	v_fma_f64 v[146:147], v[36:37], s[8:9], -v[170:171]
	v_add_f64_e32 v[120:121], v[146:147], v[120:121]
	v_fma_f64 v[146:147], v[38:39], s[8:9], v[198:199]
	s_delay_alu instid0(VALU_DEP_1) | instskip(SKIP_1) | instid1(VALU_DEP_1)
	v_add_f64_e32 v[144:145], v[146:147], v[144:145]
	v_fma_f64 v[146:147], v[28:29], s[20:21], -v[200:201]
	v_add_f64_e32 v[120:121], v[146:147], v[120:121]
	;; [unrolled: 5-line block ×5, first 2 shown]
	v_mul_f64_e32 v[120:121], s[46:47], v[4:5]
	s_delay_alu instid0(VALU_DEP_1) | instskip(NEXT) | instid1(VALU_DEP_1)
	v_fma_f64 v[148:149], v[10:11], s[16:17], v[120:121]
	v_add_f64_e32 v[146:147], v[148:149], v[146:147]
	v_fma_f64 v[148:149], v[36:37], s[18:19], -v[166:167]
	s_delay_alu instid0(VALU_DEP_1) | instskip(SKIP_1) | instid1(VALU_DEP_1)
	v_add_f64_e32 v[122:123], v[148:149], v[122:123]
	v_fma_f64 v[148:149], v[38:39], s[18:19], v[214:215]
	v_add_f64_e32 v[148:149], v[148:149], v[150:151]
	v_fma_f64 v[150:151], v[28:29], s[16:17], -v[216:217]
	s_delay_alu instid0(VALU_DEP_1) | instskip(SKIP_1) | instid1(VALU_DEP_1)
	v_add_f64_e32 v[122:123], v[150:151], v[122:123]
	;; [unrolled: 5-line block ×4, first 2 shown]
	v_fma_f64 v[150:151], v[14:15], s[20:21], v[226:227]
	v_add_f64_e32 v[150:151], v[150:151], v[148:149]
	v_fma_f64 v[148:149], v[8:9], s[14:15], -v[228:229]
	s_delay_alu instid0(VALU_DEP_1) | instskip(SKIP_2) | instid1(VALU_DEP_2)
	v_add_f64_e32 v[148:149], v[148:149], v[122:123]
	v_mul_f64_e32 v[122:123], s[28:29], v[4:5]
	v_mul_f64_e32 v[4:5], s[40:41], v[4:5]
	v_fma_f64 v[159:160], v[10:11], s[14:15], v[122:123]
	s_delay_alu instid0(VALU_DEP_1) | instskip(SKIP_2) | instid1(VALU_DEP_2)
	v_add_f64_e32 v[150:151], v[159:160], v[150:151]
	v_fma_f64 v[159:160], v[36:37], s[20:21], -v[42:43]
	v_fma_f64 v[42:43], v[36:37], s[20:21], v[42:43]
	v_add_f64_e32 v[152:153], v[159:160], v[152:153]
	v_fma_f64 v[159:160], v[38:39], s[20:21], v[40:41]
	v_fma_f64 v[40:41], v[38:39], s[20:21], -v[40:41]
	s_delay_alu instid0(VALU_DEP_4) | instskip(SKIP_1) | instid1(VALU_DEP_4)
	v_add_f64_e32 v[42:43], v[42:43], v[44:45]
	v_add_f64_e32 v[44:45], v[92:93], v[56:57]
	;; [unrolled: 1-line block ×3, first 2 shown]
	v_fma_f64 v[159:160], v[28:29], s[8:9], -v[34:35]
	v_add_f64_e32 v[40:41], v[40:41], v[48:49]
	v_fma_f64 v[34:35], v[28:29], s[8:9], v[34:35]
	v_add_f64_e64 v[48:49], v[94:95], -v[58:59]
	s_delay_alu instid0(VALU_DEP_4) | instskip(SKIP_4) | instid1(VALU_DEP_4)
	v_add_f64_e32 v[152:153], v[159:160], v[152:153]
	v_fma_f64 v[159:160], v[30:31], s[8:9], v[32:33]
	v_fma_f64 v[32:33], v[30:31], s[8:9], -v[32:33]
	v_add_f64_e32 v[34:35], v[34:35], v[42:43]
	v_add_f64_e64 v[42:43], v[104:105], -v[64:65]
	v_add_f64_e32 v[154:155], v[159:160], v[154:155]
	v_fma_f64 v[159:160], v[20:21], s[16:17], -v[26:27]
	v_add_f64_e32 v[32:33], v[32:33], v[40:41]
	v_fma_f64 v[26:27], v[20:21], s[16:17], v[26:27]
	v_add_f64_e64 v[40:41], v[96:97], -v[60:61]
	s_delay_alu instid0(VALU_DEP_4) | instskip(SKIP_3) | instid1(VALU_DEP_3)
	v_add_f64_e32 v[152:153], v[159:160], v[152:153]
	v_fma_f64 v[159:160], v[22:23], s[16:17], v[24:25]
	v_fma_f64 v[24:25], v[22:23], s[16:17], -v[24:25]
	v_add_f64_e32 v[26:27], v[26:27], v[34:35]
	v_add_f64_e32 v[154:155], v[159:160], v[154:155]
	v_fma_f64 v[159:160], v[12:13], s[14:15], -v[18:19]
	s_delay_alu instid0(VALU_DEP_4) | instskip(SKIP_1) | instid1(VALU_DEP_3)
	v_add_f64_e32 v[24:25], v[24:25], v[32:33]
	v_fma_f64 v[18:19], v[12:13], s[14:15], v[18:19]
	v_add_f64_e32 v[152:153], v[159:160], v[152:153]
	v_fma_f64 v[159:160], v[14:15], s[14:15], v[16:17]
	v_fma_f64 v[16:17], v[14:15], s[14:15], -v[16:17]
	s_delay_alu instid0(VALU_DEP_4) | instskip(NEXT) | instid1(VALU_DEP_3)
	v_add_f64_e32 v[18:19], v[18:19], v[26:27]
	v_add_f64_e32 v[154:155], v[159:160], v[154:155]
	v_fma_f64 v[159:160], v[8:9], s[18:19], -v[6:7]
	s_delay_alu instid0(VALU_DEP_4) | instskip(SKIP_1) | instid1(VALU_DEP_3)
	v_add_f64_e32 v[16:17], v[16:17], v[24:25]
	v_fma_f64 v[6:7], v[8:9], s[18:19], v[6:7]
	v_add_f64_e32 v[152:153], v[159:160], v[152:153]
	v_fma_f64 v[159:160], v[10:11], s[18:19], v[4:5]
	v_fma_f64 v[4:5], v[10:11], s[18:19], -v[4:5]
	s_delay_alu instid0(VALU_DEP_2) | instskip(NEXT) | instid1(VALU_DEP_2)
	v_add_f64_e32 v[154:155], v[159:160], v[154:155]
	v_add_f64_e32 v[162:163], v[4:5], v[16:17]
	v_fma_f64 v[4:5], v[36:37], s[18:19], v[166:167]
	v_add_f64_e32 v[160:161], v[6:7], v[18:19]
	v_fma_f64 v[6:7], v[38:39], s[18:19], -v[214:215]
	v_fma_f64 v[16:17], v[28:29], s[16:17], v[216:217]
	v_fma_f64 v[18:19], v[10:11], s[14:15], -v[122:123]
	v_add_f64_e64 v[122:123], v[86:87], -v[82:83]
	v_add_f64_e32 v[4:5], v[4:5], v[112:113]
	v_add_f64_e64 v[112:113], v[84:85], -v[80:81]
	v_add_f64_e32 v[6:7], v[6:7], v[164:165]
	s_delay_alu instid0(VALU_DEP_3) | instskip(SKIP_1) | instid1(VALU_DEP_1)
	v_add_f64_e32 v[4:5], v[16:17], v[4:5]
	v_fma_f64 v[16:17], v[30:31], s[16:17], -v[218:219]
	v_add_f64_e32 v[6:7], v[16:17], v[6:7]
	v_fma_f64 v[16:17], v[20:21], s[2:3], v[220:221]
	s_delay_alu instid0(VALU_DEP_1) | instskip(SKIP_1) | instid1(VALU_DEP_1)
	v_add_f64_e32 v[4:5], v[16:17], v[4:5]
	v_fma_f64 v[16:17], v[22:23], s[2:3], -v[222:223]
	v_add_f64_e32 v[6:7], v[16:17], v[6:7]
	v_fma_f64 v[16:17], v[12:13], s[20:21], v[224:225]
	s_delay_alu instid0(VALU_DEP_1) | instskip(SKIP_1) | instid1(VALU_DEP_1)
	v_add_f64_e32 v[4:5], v[16:17], v[4:5]
	v_fma_f64 v[16:17], v[14:15], s[20:21], -v[226:227]
	v_add_f64_e32 v[6:7], v[16:17], v[6:7]
	v_fma_f64 v[16:17], v[8:9], s[14:15], v[228:229]
	s_delay_alu instid0(VALU_DEP_2) | instskip(NEXT) | instid1(VALU_DEP_2)
	v_add_f64_e32 v[166:167], v[18:19], v[6:7]
	v_add_f64_e32 v[164:165], v[16:17], v[4:5]
	v_fma_f64 v[4:5], v[36:37], s[8:9], v[170:171]
	v_fma_f64 v[6:7], v[38:39], s[8:9], -v[198:199]
	v_fma_f64 v[16:17], v[28:29], s[20:21], v[200:201]
	v_fma_f64 v[18:19], v[10:11], s[16:17], -v[120:121]
	v_add_f64_e64 v[120:121], v[90:91], -v[78:79]
	v_add_f64_e32 v[4:5], v[4:5], v[110:111]
	v_add_f64_e32 v[6:7], v[6:7], v[168:169]
	v_add_f64_e64 v[110:111], v[88:89], -v[76:77]
	s_delay_alu instid0(VALU_DEP_3) | instskip(SKIP_1) | instid1(VALU_DEP_3)
	v_add_f64_e32 v[4:5], v[16:17], v[4:5]
	v_fma_f64 v[16:17], v[30:31], s[20:21], -v[202:203]
	v_mul_f64_e32 v[34:35], s[26:27], v[110:111]
	s_delay_alu instid0(VALU_DEP_2) | instskip(SKIP_1) | instid1(VALU_DEP_1)
	v_add_f64_e32 v[6:7], v[16:17], v[6:7]
	v_fma_f64 v[16:17], v[20:21], s[18:19], v[204:205]
	v_add_f64_e32 v[4:5], v[16:17], v[4:5]
	v_fma_f64 v[16:17], v[22:23], s[18:19], -v[206:207]
	s_delay_alu instid0(VALU_DEP_1) | instskip(SKIP_1) | instid1(VALU_DEP_1)
	v_add_f64_e32 v[6:7], v[16:17], v[6:7]
	v_fma_f64 v[16:17], v[12:13], s[2:3], v[208:209]
	v_add_f64_e32 v[4:5], v[16:17], v[4:5]
	v_fma_f64 v[16:17], v[14:15], s[2:3], -v[210:211]
	s_delay_alu instid0(VALU_DEP_1) | instskip(SKIP_1) | instid1(VALU_DEP_2)
	v_add_f64_e32 v[6:7], v[16:17], v[6:7]
	v_fma_f64 v[16:17], v[8:9], s[16:17], v[212:213]
	v_add_f64_e32 v[170:171], v[18:19], v[6:7]
	s_delay_alu instid0(VALU_DEP_2)
	v_add_f64_e32 v[168:169], v[16:17], v[4:5]
	v_fma_f64 v[4:5], v[36:37], s[2:3], v[52:53]
	v_fma_f64 v[6:7], v[38:39], s[2:3], -v[174:175]
	v_fma_f64 v[16:17], v[28:29], s[14:15], v[184:185]
	v_fma_f64 v[18:19], v[10:11], s[8:9], -v[118:119]
	v_add_f64_e64 v[52:53], v[92:93], -v[56:57]
	v_add_f64_e64 v[118:119], v[102:103], -v[70:71]
	v_add_f64_e32 v[4:5], v[4:5], v[108:109]
	v_add_f64_e32 v[6:7], v[6:7], v[172:173]
	v_add_f64_e64 v[108:109], v[100:101], -v[68:69]
	s_delay_alu instid0(VALU_DEP_3) | instskip(SKIP_1) | instid1(VALU_DEP_1)
	v_add_f64_e32 v[4:5], v[16:17], v[4:5]
	v_fma_f64 v[16:17], v[30:31], s[14:15], -v[186:187]
	v_add_f64_e32 v[6:7], v[16:17], v[6:7]
	v_fma_f64 v[16:17], v[20:21], s[20:21], v[188:189]
	s_delay_alu instid0(VALU_DEP_1) | instskip(SKIP_1) | instid1(VALU_DEP_1)
	v_add_f64_e32 v[4:5], v[16:17], v[4:5]
	v_fma_f64 v[16:17], v[22:23], s[20:21], -v[190:191]
	v_add_f64_e32 v[6:7], v[16:17], v[6:7]
	v_fma_f64 v[16:17], v[12:13], s[16:17], v[192:193]
	s_delay_alu instid0(VALU_DEP_1) | instskip(SKIP_1) | instid1(VALU_DEP_1)
	v_add_f64_e32 v[4:5], v[16:17], v[4:5]
	v_fma_f64 v[16:17], v[14:15], s[16:17], -v[194:195]
	v_add_f64_e32 v[6:7], v[16:17], v[6:7]
	v_fma_f64 v[16:17], v[8:9], s[8:9], v[196:197]
	s_delay_alu instid0(VALU_DEP_2) | instskip(NEXT) | instid1(VALU_DEP_2)
	v_add_f64_e32 v[174:175], v[18:19], v[6:7]
	v_add_f64_e32 v[172:173], v[16:17], v[4:5]
	v_fma_f64 v[4:5], v[38:39], s[14:15], -v[50:51]
	v_fma_f64 v[6:7], v[28:29], s[2:3], v[54:55]
	v_fma_f64 v[16:17], v[30:31], s[2:3], -v[114:115]
	v_fma_f64 v[18:19], v[22:23], s[8:9], -v[176:177]
	v_add_f64_e64 v[114:115], v[98:99], -v[62:63]
	v_add_f64_e32 v[50:51], v[94:95], v[58:59]
	v_mul_f64_e32 v[54:55], s[22:23], v[52:53]
	v_mul_f64_e32 v[22:23], s[24:25], v[42:43]
	v_add_f64_e32 v[28:29], v[102:103], v[70:71]
	v_mul_f64_e32 v[30:31], s[28:29], v[108:109]
	v_add_f64_e32 v[2:3], v[4:5], v[157:158]
	v_fma_f64 v[4:5], v[20:21], s[8:9], v[116:117]
	v_add_f64_e32 v[0:1], v[6:7], v[0:1]
	v_fma_f64 v[6:7], v[14:15], s[18:19], -v[180:181]
	v_add_f64_e64 v[116:117], v[106:107], -v[66:67]
	v_add_f64_e32 v[20:21], v[106:107], v[66:67]
	v_add_f64_e32 v[2:3], v[16:17], v[2:3]
	;; [unrolled: 1-line block ×3, first 2 shown]
	v_fma_f64 v[4:5], v[12:13], s[18:19], v[178:179]
	s_delay_alu instid0(VALU_DEP_3) | instskip(NEXT) | instid1(VALU_DEP_2)
	v_add_f64_e32 v[2:3], v[18:19], v[2:3]
	v_add_f64_e32 v[0:1], v[4:5], v[0:1]
	v_fma_f64 v[4:5], v[8:9], s[20:21], v[182:183]
	s_delay_alu instid0(VALU_DEP_3) | instskip(SKIP_2) | instid1(VALU_DEP_4)
	v_add_f64_e32 v[2:3], v[6:7], v[2:3]
	v_fma_f64 v[6:7], v[10:11], s[20:21], -v[46:47]
	v_mul_f64_e32 v[46:47], s[22:23], v[48:49]
	v_add_f64_e32 v[176:177], v[4:5], v[0:1]
	s_delay_alu instid0(VALU_DEP_3) | instskip(NEXT) | instid1(VALU_DEP_3)
	v_add_f64_e32 v[178:179], v[6:7], v[2:3]
	v_fma_f64 v[0:1], v[44:45], s[20:21], v[46:47]
	v_mul_f64_e32 v[2:3], s[30:31], v[114:115]
	s_delay_alu instid0(VALU_DEP_2) | instskip(SKIP_1) | instid1(VALU_DEP_1)
	v_add_f64_e32 v[4:5], v[72:73], v[0:1]
	v_add_f64_e32 v[0:1], v[96:97], v[60:61]
	v_fma_f64 v[6:7], v[0:1], s[16:17], v[2:3]
	s_delay_alu instid0(VALU_DEP_1) | instskip(SKIP_2) | instid1(VALU_DEP_2)
	v_add_f64_e32 v[12:13], v[6:7], v[4:5]
	v_fma_f64 v[4:5], v[50:51], s[20:21], -v[54:55]
	v_mul_f64_e32 v[6:7], s[30:31], v[40:41]
	v_add_f64_e32 v[8:9], v[74:75], v[4:5]
	v_add_f64_e32 v[4:5], v[98:99], v[62:63]
	s_delay_alu instid0(VALU_DEP_1) | instskip(NEXT) | instid1(VALU_DEP_1)
	v_fma_f64 v[10:11], v[4:5], s[16:17], -v[6:7]
	v_add_f64_e32 v[14:15], v[10:11], v[8:9]
	v_add_f64_e32 v[8:9], v[104:105], v[64:65]
	v_mul_f64_e32 v[10:11], s[24:25], v[116:117]
	s_delay_alu instid0(VALU_DEP_1) | instskip(NEXT) | instid1(VALU_DEP_1)
	v_fma_f64 v[16:17], v[8:9], s[18:19], v[10:11]
	v_add_f64_e32 v[16:17], v[16:17], v[12:13]
	v_fma_f64 v[12:13], v[20:21], s[18:19], -v[22:23]
	s_delay_alu instid0(VALU_DEP_1) | instskip(SKIP_2) | instid1(VALU_DEP_1)
	v_add_f64_e32 v[18:19], v[12:13], v[14:15]
	v_add_f64_e32 v[12:13], v[100:101], v[68:69]
	v_mul_f64_e32 v[14:15], s[28:29], v[118:119]
	v_fma_f64 v[24:25], v[12:13], s[14:15], v[14:15]
	s_delay_alu instid0(VALU_DEP_1) | instskip(SKIP_1) | instid1(VALU_DEP_1)
	v_add_f64_e32 v[24:25], v[24:25], v[16:17]
	v_fma_f64 v[16:17], v[28:29], s[14:15], -v[30:31]
	v_add_f64_e32 v[26:27], v[16:17], v[18:19]
	v_add_f64_e32 v[16:17], v[88:89], v[76:77]
	v_mul_f64_e32 v[18:19], s[26:27], v[120:121]
	s_delay_alu instid0(VALU_DEP_1) | instskip(NEXT) | instid1(VALU_DEP_1)
	v_fma_f64 v[32:33], v[16:17], s[8:9], v[18:19]
	v_add_f64_e32 v[36:37], v[32:33], v[24:25]
	v_add_f64_e32 v[32:33], v[90:91], v[78:79]
	s_delay_alu instid0(VALU_DEP_1) | instskip(NEXT) | instid1(VALU_DEP_1)
	v_fma_f64 v[24:25], v[32:33], s[8:9], -v[34:35]
	v_add_f64_e32 v[157:158], v[24:25], v[26:27]
	v_add_f64_e32 v[24:25], v[84:85], v[80:81]
	v_mul_f64_e32 v[26:27], s[34:35], v[122:123]
	s_delay_alu instid0(VALU_DEP_1) | instskip(NEXT) | instid1(VALU_DEP_1)
	v_fma_f64 v[38:39], v[24:25], s[2:3], v[26:27]
	v_add_f64_e32 v[182:183], v[38:39], v[36:37]
	v_add_f64_e32 v[36:37], v[86:87], v[82:83]
	v_mul_f64_e32 v[38:39], s[34:35], v[112:113]
	s_delay_alu instid0(VALU_DEP_1) | instskip(NEXT) | instid1(VALU_DEP_1)
	v_fma_f64 v[180:181], v[36:37], s[2:3], -v[38:39]
	v_add_f64_e32 v[184:185], v[180:181], v[157:158]
	scratch_load_b32 v158, off, off         ; 4-byte Folded Reload
	scratch_store_b128 off, v[182:185], off offset:12 ; 16-byte Folded Spill
	global_wb scope:SCOPE_SE
	s_wait_loadcnt 0x0
	s_wait_storecnt 0x0
	s_wait_kmcnt 0x0
	s_barrier_signal -1
	s_barrier_wait -1
	global_inv scope:SCOPE_SE
	v_mul_lo_u16 v157, v158, 13
	s_delay_alu instid0(VALU_DEP_1) | instskip(NEXT) | instid1(VALU_DEP_1)
	v_and_b32_e32 v157, 0xffff, v157
	v_lshl_add_u32 v159, v157, 4, v230
	ds_store_b128 v159, v[124:127]
	ds_store_b128 v159, v[128:131] offset:16
	ds_store_b128 v159, v[136:139] offset:32
	;; [unrolled: 1-line block ×12, first 2 shown]
	v_add_co_u32 v148, null, v158, 13
	s_delay_alu instid0(VALU_DEP_1)
	v_mul_u32_u24_e32 v124, 13, v148
	scratch_store_b32 off, v124, off offset:564 ; 4-byte Folded Spill
	s_and_saveexec_b32 s33, vcc_lo
	s_cbranch_execz .LBB0_7
; %bb.6:
	v_add_f64_e32 v[92:93], v[72:73], v[92:93]
	v_add_f64_e32 v[94:95], v[74:75], v[94:95]
	v_mul_f64_e32 v[144:145], s[40:41], v[122:123]
	v_mul_f64_e32 v[146:147], s[36:37], v[118:119]
	;; [unrolled: 1-line block ×15, first 2 shown]
	v_add_f64_e32 v[92:93], v[92:93], v[96:97]
	v_add_f64_e32 v[94:95], v[94:95], v[98:99]
	v_mul_f64_e32 v[96:97], s[18:19], v[50:51]
	s_delay_alu instid0(VALU_DEP_3) | instskip(NEXT) | instid1(VALU_DEP_3)
	v_add_f64_e32 v[92:93], v[92:93], v[104:105]
	v_add_f64_e32 v[94:95], v[94:95], v[106:107]
	s_delay_alu instid0(VALU_DEP_3)
	v_fma_f64 v[98:99], v[52:53], s[40:41], v[96:97]
	v_fma_f64 v[96:97], v[52:53], s[24:25], v[96:97]
	v_mul_f64_e32 v[104:105], s[28:29], v[48:49]
	v_mul_f64_e32 v[106:107], s[24:25], v[48:49]
	v_add_f64_e32 v[92:93], v[92:93], v[100:101]
	v_add_f64_e32 v[94:95], v[94:95], v[102:103]
	v_mul_f64_e32 v[100:101], s[16:17], v[50:51]
	v_add_f64_e32 v[98:99], v[74:75], v[98:99]
	v_fma_f64 v[128:129], v[44:45], s[14:15], v[104:105]
	v_fma_f64 v[104:105], v[44:45], s[14:15], -v[104:105]
	v_fma_f64 v[130:131], v[44:45], s[18:19], v[106:107]
	v_fma_f64 v[106:107], v[44:45], s[18:19], -v[106:107]
	v_add_f64_e32 v[96:97], v[74:75], v[96:97]
	v_add_f64_e32 v[88:89], v[92:93], v[88:89]
	;; [unrolled: 1-line block ×3, first 2 shown]
	v_mul_f64_e32 v[92:93], s[14:15], v[50:51]
	v_fma_f64 v[102:103], v[52:53], s[46:47], v[100:101]
	v_add_f64_e32 v[104:105], v[72:73], v[104:105]
	v_add_f64_e32 v[106:107], v[72:73], v[106:107]
	;; [unrolled: 1-line block ×4, first 2 shown]
	v_mul_f64_e32 v[88:89], s[8:9], v[50:51]
	v_fma_f64 v[94:95], v[52:53], s[38:39], v[92:93]
	v_fma_f64 v[92:93], v[52:53], s[28:29], v[92:93]
	v_add_f64_e32 v[102:103], v[74:75], v[102:103]
	v_add_f64_e32 v[80:81], v[84:85], v[80:81]
	v_mul_f64_e32 v[84:85], s[2:3], v[50:51]
	v_mul_f64_e32 v[50:51], s[20:21], v[50:51]
	v_add_f64_e32 v[82:83], v[86:87], v[82:83]
	v_fma_f64 v[90:91], v[52:53], s[36:37], v[88:89]
	v_fma_f64 v[88:89], v[52:53], s[26:27], v[88:89]
	v_add_f64_e32 v[94:95], v[74:75], v[94:95]
	v_add_f64_e32 v[92:93], v[74:75], v[92:93]
	;; [unrolled: 1-line block ×3, first 2 shown]
	v_fma_f64 v[86:87], v[52:53], s[42:43], v[84:85]
	v_fma_f64 v[84:85], v[52:53], s[34:35], v[84:85]
	;; [unrolled: 1-line block ×3, first 2 shown]
	v_add_f64_e32 v[50:51], v[54:55], v[50:51]
	v_mul_f64_e32 v[54:55], s[34:35], v[48:49]
	v_mul_f64_e32 v[100:101], s[26:27], v[48:49]
	;; [unrolled: 1-line block ×3, first 2 shown]
	v_add_f64_e32 v[90:91], v[74:75], v[90:91]
	v_add_f64_e32 v[88:89], v[74:75], v[88:89]
	;; [unrolled: 1-line block ×5, first 2 shown]
	v_fma_f64 v[124:125], v[44:45], s[2:3], v[54:55]
	v_fma_f64 v[54:55], v[44:45], s[2:3], -v[54:55]
	v_fma_f64 v[126:127], v[44:45], s[8:9], v[100:101]
	v_fma_f64 v[100:101], v[44:45], s[8:9], -v[100:101]
	;; [unrolled: 2-line block ×3, first 2 shown]
	v_mul_f64_e32 v[44:45], s[20:21], v[44:45]
	v_mul_f64_e32 v[50:51], s[44:45], v[114:115]
	v_add_f64_e32 v[54:55], v[72:73], v[54:55]
	v_add_f64_e32 v[100:101], v[72:73], v[100:101]
	;; [unrolled: 1-line block ×3, first 2 shown]
	v_add_f64_e64 v[44:45], v[44:45], -v[46:47]
	v_mul_f64_e32 v[48:49], s[20:21], v[4:5]
	v_add_f64_e32 v[46:47], v[74:75], v[86:87]
	v_add_f64_e32 v[86:87], v[72:73], v[124:125]
	;; [unrolled: 1-line block ×7, first 2 shown]
	v_mul_f64_e32 v[52:53], s[8:9], v[20:21]
	v_add_f64_e32 v[138:139], v[72:73], v[44:45]
	v_fma_f64 v[44:45], v[40:41], s[22:23], v[48:49]
	v_fma_f64 v[48:49], v[40:41], s[44:45], v[48:49]
	s_delay_alu instid0(VALU_DEP_4) | instskip(SKIP_1) | instid1(VALU_DEP_4)
	v_fma_f64 v[72:73], v[42:43], s[36:37], v[52:53]
	v_fma_f64 v[52:53], v[42:43], s[26:27], v[52:53]
	v_add_f64_e32 v[44:45], v[44:45], v[46:47]
	v_fma_f64 v[46:47], v[0:1], s[20:21], v[50:51]
	v_add_f64_e32 v[48:49], v[48:49], v[84:85]
	v_fma_f64 v[50:51], v[0:1], s[20:21], -v[50:51]
	s_delay_alu instid0(VALU_DEP_4) | instskip(SKIP_2) | instid1(VALU_DEP_4)
	v_add_f64_e32 v[44:45], v[72:73], v[44:45]
	v_mul_f64_e32 v[72:73], s[26:27], v[116:117]
	v_add_f64_e32 v[46:47], v[46:47], v[86:87]
	v_add_f64_e32 v[50:51], v[50:51], v[54:55]
	;; [unrolled: 1-line block ×3, first 2 shown]
	v_mul_f64_e32 v[86:87], s[18:19], v[36:37]
	v_fma_f64 v[54:55], v[24:25], s[18:19], -v[144:145]
	v_fma_f64 v[74:75], v[8:9], s[8:9], v[72:73]
	v_fma_f64 v[52:53], v[8:9], s[8:9], -v[72:73]
	v_mul_f64_e32 v[72:73], s[18:19], v[4:5]
	s_delay_alu instid0(VALU_DEP_3) | instskip(SKIP_1) | instid1(VALU_DEP_4)
	v_add_f64_e32 v[46:47], v[74:75], v[46:47]
	v_mul_f64_e32 v[74:75], s[16:17], v[28:29]
	v_add_f64_e32 v[50:51], v[52:53], v[50:51]
	s_delay_alu instid0(VALU_DEP_2) | instskip(SKIP_2) | instid1(VALU_DEP_3)
	v_fma_f64 v[76:77], v[108:109], s[30:31], v[74:75]
	v_fma_f64 v[52:53], v[108:109], s[46:47], v[74:75]
	v_mul_f64_e32 v[74:75], s[40:41], v[114:115]
	v_add_f64_e32 v[44:45], v[76:77], v[44:45]
	v_mul_f64_e32 v[76:77], s[46:47], v[118:119]
	s_delay_alu instid0(VALU_DEP_4) | instskip(NEXT) | instid1(VALU_DEP_2)
	v_add_f64_e32 v[48:49], v[52:53], v[48:49]
	v_fma_f64 v[78:79], v[12:13], s[16:17], v[76:77]
	v_fma_f64 v[52:53], v[12:13], s[16:17], -v[76:77]
	v_mul_f64_e32 v[76:77], s[16:17], v[20:21]
	s_delay_alu instid0(VALU_DEP_3) | instskip(SKIP_1) | instid1(VALU_DEP_4)
	v_add_f64_e32 v[46:47], v[78:79], v[46:47]
	v_mul_f64_e32 v[78:79], s[14:15], v[32:33]
	v_add_f64_e32 v[50:51], v[52:53], v[50:51]
	s_delay_alu instid0(VALU_DEP_2) | instskip(SKIP_3) | instid1(VALU_DEP_4)
	v_fma_f64 v[80:81], v[110:111], s[38:39], v[78:79]
	v_fma_f64 v[52:53], v[110:111], s[28:29], v[78:79]
	;; [unrolled: 1-line block ×4, first 2 shown]
	v_add_f64_e32 v[44:45], v[80:81], v[44:45]
	v_mul_f64_e32 v[80:81], s[28:29], v[120:121]
	v_add_f64_e32 v[48:49], v[52:53], v[48:49]
	s_delay_alu instid0(VALU_DEP_2) | instskip(SKIP_1) | instid1(VALU_DEP_2)
	v_fma_f64 v[52:53], v[16:17], s[14:15], -v[80:81]
	v_fma_f64 v[82:83], v[16:17], s[14:15], v[80:81]
	v_add_f64_e32 v[52:53], v[52:53], v[50:51]
	v_fma_f64 v[50:51], v[112:113], s[40:41], v[86:87]
	s_delay_alu instid0(VALU_DEP_3) | instskip(SKIP_1) | instid1(VALU_DEP_3)
	v_add_f64_e32 v[82:83], v[82:83], v[46:47]
	v_fma_f64 v[46:47], v[112:113], s[24:25], v[86:87]
	v_add_f64_e32 v[50:51], v[50:51], v[48:49]
	v_add_f64_e32 v[48:49], v[54:55], v[52:53]
	v_fma_f64 v[52:53], v[40:41], s[24:25], v[72:73]
	v_fma_f64 v[54:55], v[0:1], s[18:19], v[74:75]
	v_add_f64_e32 v[46:47], v[46:47], v[44:45]
	v_fma_f64 v[44:45], v[24:25], s[18:19], v[144:145]
	v_fma_f64 v[72:73], v[40:41], s[40:41], v[72:73]
	v_fma_f64 v[74:75], v[0:1], s[18:19], -v[74:75]
	v_mul_f64_e32 v[144:145], s[28:29], v[122:123]
	v_mul_f64_e32 v[122:123], s[46:47], v[122:123]
	v_add_f64_e32 v[52:53], v[52:53], v[90:91]
	v_add_f64_e32 v[54:55], v[54:55], v[124:125]
	v_mul_f64_e32 v[124:125], s[14:15], v[36:37]
	v_add_f64_e32 v[44:45], v[44:45], v[82:83]
	v_add_f64_e32 v[72:73], v[72:73], v[88:89]
	;; [unrolled: 1-line block ×3, first 2 shown]
	v_mul_f64_e32 v[100:101], s[14:15], v[4:5]
	v_mul_f64_e32 v[88:89], s[8:9], v[4:5]
	;; [unrolled: 1-line block ×3, first 2 shown]
	v_add_f64_e32 v[52:53], v[78:79], v[52:53]
	v_mul_f64_e32 v[78:79], s[30:31], v[116:117]
	v_add_f64_e32 v[72:73], v[76:77], v[72:73]
	s_delay_alu instid0(VALU_DEP_4) | instskip(SKIP_1) | instid1(VALU_DEP_4)
	v_add_f64_e32 v[4:5], v[6:7], v[4:5]
	v_mul_f64_e32 v[6:7], s[18:19], v[8:9]
	v_fma_f64 v[80:81], v[8:9], s[16:17], v[78:79]
	v_fma_f64 v[76:77], v[8:9], s[16:17], -v[78:79]
	v_fma_f64 v[78:79], v[24:25], s[14:15], -v[144:145]
	v_add_f64_e32 v[4:5], v[4:5], v[136:137]
	v_add_f64_e64 v[6:7], v[6:7], -v[10:11]
	v_mul_f64_e32 v[10:11], s[8:9], v[32:33]
	v_add_f64_e32 v[54:55], v[80:81], v[54:55]
	v_mul_f64_e32 v[80:81], s[2:3], v[28:29]
	v_add_f64_e32 v[74:75], v[76:77], v[74:75]
	s_delay_alu instid0(VALU_DEP_4) | instskip(NEXT) | instid1(VALU_DEP_3)
	v_add_f64_e32 v[10:11], v[34:35], v[10:11]
	v_fma_f64 v[82:83], v[108:109], s[34:35], v[80:81]
	v_fma_f64 v[76:77], v[108:109], s[42:43], v[80:81]
	s_delay_alu instid0(VALU_DEP_2) | instskip(SKIP_1) | instid1(VALU_DEP_3)
	v_add_f64_e32 v[52:53], v[82:83], v[52:53]
	v_mul_f64_e32 v[82:83], s[42:43], v[118:119]
	v_add_f64_e32 v[72:73], v[76:77], v[72:73]
	s_delay_alu instid0(VALU_DEP_2) | instskip(SKIP_1) | instid1(VALU_DEP_2)
	v_fma_f64 v[84:85], v[12:13], s[2:3], v[82:83]
	v_fma_f64 v[76:77], v[12:13], s[2:3], -v[82:83]
	v_add_f64_e32 v[54:55], v[84:85], v[54:55]
	v_mul_f64_e32 v[84:85], s[20:21], v[32:33]
	s_delay_alu instid0(VALU_DEP_3) | instskip(NEXT) | instid1(VALU_DEP_2)
	v_add_f64_e32 v[74:75], v[76:77], v[74:75]
	v_fma_f64 v[86:87], v[110:111], s[22:23], v[84:85]
	v_fma_f64 v[76:77], v[110:111], s[44:45], v[84:85]
	s_delay_alu instid0(VALU_DEP_2) | instskip(SKIP_1) | instid1(VALU_DEP_3)
	v_add_f64_e32 v[52:53], v[86:87], v[52:53]
	v_mul_f64_e32 v[86:87], s[44:45], v[120:121]
	v_add_f64_e32 v[72:73], v[76:77], v[72:73]
	v_mul_f64_e32 v[120:121], s[42:43], v[120:121]
	s_delay_alu instid0(VALU_DEP_3) | instskip(SKIP_1) | instid1(VALU_DEP_2)
	v_fma_f64 v[76:77], v[16:17], s[20:21], -v[86:87]
	v_fma_f64 v[90:91], v[16:17], s[20:21], v[86:87]
	v_add_f64_e32 v[76:77], v[76:77], v[74:75]
	v_fma_f64 v[74:75], v[112:113], s[28:29], v[124:125]
	s_delay_alu instid0(VALU_DEP_3) | instskip(SKIP_2) | instid1(VALU_DEP_4)
	v_add_f64_e32 v[90:91], v[90:91], v[54:55]
	v_fma_f64 v[54:55], v[112:113], s[38:39], v[124:125]
	v_mul_f64_e32 v[124:125], s[28:29], v[114:115]
	v_add_f64_e32 v[74:75], v[74:75], v[72:73]
	v_add_f64_e32 v[72:73], v[78:79], v[76:77]
	v_fma_f64 v[76:77], v[40:41], s[28:29], v[100:101]
	s_delay_alu instid0(VALU_DEP_4)
	v_fma_f64 v[78:79], v[0:1], s[14:15], -v[124:125]
	v_add_f64_e32 v[54:55], v[54:55], v[52:53]
	v_fma_f64 v[52:53], v[24:25], s[14:15], v[144:145]
	v_mul_f64_e32 v[144:145], s[8:9], v[28:29]
	v_add_f64_e32 v[76:77], v[76:77], v[132:133]
	v_mul_f64_e32 v[132:133], s[2:3], v[20:21]
	v_add_f64_e32 v[78:79], v[78:79], v[134:135]
	;; [unrolled: 2-line block ×3, first 2 shown]
	v_mul_f64_e32 v[90:91], s[36:37], v[114:115]
	v_fma_f64 v[80:81], v[42:43], s[34:35], v[132:133]
	s_delay_alu instid0(VALU_DEP_2) | instskip(SKIP_1) | instid1(VALU_DEP_3)
	v_fma_f64 v[86:87], v[0:1], s[8:9], -v[90:91]
	v_fma_f64 v[90:91], v[0:1], s[8:9], v[90:91]
	v_add_f64_e32 v[76:77], v[80:81], v[76:77]
	v_fma_f64 v[80:81], v[8:9], s[2:3], -v[134:135]
	s_delay_alu instid0(VALU_DEP_4) | instskip(NEXT) | instid1(VALU_DEP_4)
	v_add_f64_e32 v[86:87], v[86:87], v[104:105]
	v_add_f64_e32 v[90:91], v[90:91], v[126:127]
	s_delay_alu instid0(VALU_DEP_3) | instskip(SKIP_1) | instid1(VALU_DEP_1)
	v_add_f64_e32 v[78:79], v[80:81], v[78:79]
	v_fma_f64 v[80:81], v[108:109], s[36:37], v[144:145]
	v_add_f64_e32 v[76:77], v[80:81], v[76:77]
	v_fma_f64 v[80:81], v[12:13], s[8:9], -v[146:147]
	s_delay_alu instid0(VALU_DEP_1) | instskip(SKIP_1) | instid1(VALU_DEP_1)
	v_add_f64_e32 v[78:79], v[80:81], v[78:79]
	v_fma_f64 v[80:81], v[110:111], s[40:41], v[149:150]
	v_add_f64_e32 v[76:77], v[80:81], v[76:77]
	v_fma_f64 v[80:81], v[16:17], s[18:19], -v[151:152]
	s_delay_alu instid0(VALU_DEP_1) | instskip(SKIP_1) | instid1(VALU_DEP_1)
	;; [unrolled: 5-line block ×3, first 2 shown]
	v_add_f64_e32 v[76:77], v[76:77], v[80:81]
	v_fma_f64 v[80:81], v[40:41], s[34:35], v[160:161]
	v_add_f64_e32 v[80:81], v[80:81], v[96:97]
	v_mul_f64_e32 v[96:97], s[34:35], v[114:115]
	s_delay_alu instid0(VALU_DEP_1) | instskip(NEXT) | instid1(VALU_DEP_1)
	v_fma_f64 v[82:83], v[0:1], s[2:3], -v[96:97]
	v_add_f64_e32 v[82:83], v[82:83], v[106:107]
	v_mul_f64_e32 v[106:107], s[14:15], v[20:21]
	s_delay_alu instid0(VALU_DEP_1) | instskip(NEXT) | instid1(VALU_DEP_1)
	v_fma_f64 v[84:85], v[42:43], s[38:39], v[106:107]
	v_add_f64_e32 v[80:81], v[84:85], v[80:81]
	v_fma_f64 v[84:85], v[8:9], s[14:15], -v[162:163]
	s_delay_alu instid0(VALU_DEP_1) | instskip(SKIP_1) | instid1(VALU_DEP_1)
	v_add_f64_e32 v[82:83], v[84:85], v[82:83]
	v_fma_f64 v[84:85], v[108:109], s[44:45], v[164:165]
	v_add_f64_e32 v[80:81], v[84:85], v[80:81]
	v_fma_f64 v[84:85], v[12:13], s[20:21], -v[166:167]
	s_delay_alu instid0(VALU_DEP_1) | instskip(SKIP_1) | instid1(VALU_DEP_1)
	v_add_f64_e32 v[82:83], v[84:85], v[82:83]
	;; [unrolled: 5-line block ×3, first 2 shown]
	v_fma_f64 v[82:83], v[112:113], s[26:27], v[172:173]
	v_add_f64_e32 v[82:83], v[82:83], v[80:81]
	v_fma_f64 v[80:81], v[24:25], s[8:9], -v[174:175]
	s_delay_alu instid0(VALU_DEP_1) | instskip(SKIP_2) | instid1(VALU_DEP_2)
	v_add_f64_e32 v[80:81], v[80:81], v[84:85]
	v_fma_f64 v[84:85], v[40:41], s[36:37], v[88:89]
	v_fma_f64 v[88:89], v[40:41], s[26:27], v[88:89]
	v_add_f64_e32 v[84:85], v[84:85], v[92:93]
	v_mul_f64_e32 v[92:93], s[20:21], v[20:21]
	s_delay_alu instid0(VALU_DEP_3) | instskip(SKIP_2) | instid1(VALU_DEP_4)
	v_add_f64_e32 v[88:89], v[88:89], v[94:95]
	v_fma_f64 v[94:95], v[24:25], s[16:17], v[122:123]
	v_mul_f64_e32 v[20:21], s[18:19], v[20:21]
	v_fma_f64 v[104:105], v[42:43], s[44:45], v[92:93]
	v_fma_f64 v[92:93], v[42:43], s[22:23], v[92:93]
	s_delay_alu instid0(VALU_DEP_3) | instskip(NEXT) | instid1(VALU_DEP_3)
	v_add_f64_e32 v[20:21], v[22:23], v[20:21]
	v_add_f64_e32 v[84:85], v[104:105], v[84:85]
	v_mul_f64_e32 v[104:105], s[44:45], v[116:117]
	s_delay_alu instid0(VALU_DEP_4) | instskip(NEXT) | instid1(VALU_DEP_4)
	v_add_f64_e32 v[88:89], v[92:93], v[88:89]
	v_add_f64_e32 v[4:5], v[20:21], v[4:5]
	s_delay_alu instid0(VALU_DEP_3) | instskip(SKIP_1) | instid1(VALU_DEP_2)
	v_fma_f64 v[114:115], v[8:9], s[20:21], -v[104:105]
	v_fma_f64 v[92:93], v[8:9], s[20:21], v[104:105]
	v_add_f64_e32 v[86:87], v[114:115], v[86:87]
	v_mul_f64_e32 v[114:115], s[18:19], v[28:29]
	s_delay_alu instid0(VALU_DEP_3) | instskip(NEXT) | instid1(VALU_DEP_2)
	v_add_f64_e32 v[90:91], v[92:93], v[90:91]
	v_fma_f64 v[116:117], v[108:109], s[24:25], v[114:115]
	v_fma_f64 v[92:93], v[108:109], s[40:41], v[114:115]
	s_delay_alu instid0(VALU_DEP_2) | instskip(SKIP_1) | instid1(VALU_DEP_3)
	v_add_f64_e32 v[84:85], v[116:117], v[84:85]
	v_mul_f64_e32 v[116:117], s[24:25], v[118:119]
	v_add_f64_e32 v[88:89], v[92:93], v[88:89]
	s_delay_alu instid0(VALU_DEP_2) | instskip(SKIP_1) | instid1(VALU_DEP_2)
	v_fma_f64 v[118:119], v[12:13], s[18:19], -v[116:117]
	v_fma_f64 v[92:93], v[12:13], s[18:19], v[116:117]
	v_add_f64_e32 v[86:87], v[118:119], v[86:87]
	v_mul_f64_e32 v[118:119], s[2:3], v[32:33]
	s_delay_alu instid0(VALU_DEP_3) | instskip(NEXT) | instid1(VALU_DEP_2)
	v_add_f64_e32 v[90:91], v[92:93], v[90:91]
	v_fma_f64 v[92:93], v[110:111], s[34:35], v[118:119]
	v_fma_f64 v[176:177], v[110:111], s[42:43], v[118:119]
	s_delay_alu instid0(VALU_DEP_2) | instskip(SKIP_1) | instid1(VALU_DEP_3)
	v_add_f64_e32 v[88:89], v[92:93], v[88:89]
	v_fma_f64 v[92:93], v[16:17], s[2:3], v[120:121]
	v_add_f64_e32 v[84:85], v[176:177], v[84:85]
	v_fma_f64 v[176:177], v[16:17], s[2:3], -v[120:121]
	s_delay_alu instid0(VALU_DEP_3) | instskip(SKIP_1) | instid1(VALU_DEP_3)
	v_add_f64_e32 v[92:93], v[92:93], v[90:91]
	v_fma_f64 v[90:91], v[112:113], s[30:31], v[178:179]
	v_add_f64_e32 v[176:177], v[176:177], v[86:87]
	v_fma_f64 v[86:87], v[112:113], s[46:47], v[178:179]
	s_delay_alu instid0(VALU_DEP_3)
	v_add_f64_e32 v[90:91], v[90:91], v[88:89]
	v_add_f64_e32 v[88:89], v[94:95], v[92:93]
	;; [unrolled: 1-line block ×3, first 2 shown]
	v_fma_f64 v[68:69], v[40:41], s[42:43], v[160:161]
	v_add_f64_e32 v[92:93], v[140:141], v[70:71]
	v_fma_f64 v[70:71], v[0:1], s[2:3], v[96:97]
	v_fma_f64 v[96:97], v[42:43], s[28:29], v[106:107]
	;; [unrolled: 1-line block ×4, first 2 shown]
	v_add_f64_e32 v[86:87], v[86:87], v[84:85]
	v_fma_f64 v[84:85], v[24:25], s[16:17], -v[122:123]
	v_add_f64_e32 v[64:65], v[94:95], v[64:65]
	v_add_f64_e32 v[68:69], v[68:69], v[98:99]
	v_fma_f64 v[98:99], v[24:25], s[8:9], v[174:175]
	v_add_f64_e32 v[70:71], v[70:71], v[128:129]
	v_add_f64_e32 v[66:67], v[92:93], v[66:67]
	;; [unrolled: 1-line block ×3, first 2 shown]
	v_fma_f64 v[92:93], v[108:109], s[26:27], v[144:145]
	v_fma_f64 v[94:95], v[110:111], s[24:25], v[149:150]
	v_add_f64_e32 v[84:85], v[84:85], v[176:177]
	v_add_f64_e32 v[60:61], v[64:65], v[60:61]
	;; [unrolled: 1-line block ×3, first 2 shown]
	v_fma_f64 v[96:97], v[8:9], s[14:15], v[162:163]
	v_add_f64_e32 v[62:63], v[66:67], v[62:63]
	v_add_f64_e32 v[40:41], v[42:43], v[40:41]
	v_fma_f64 v[42:43], v[8:9], s[2:3], v[134:135]
	v_mul_f64_e32 v[8:9], s[14:15], v[12:13]
	v_add_f64_e32 v[70:71], v[96:97], v[70:71]
	v_fma_f64 v[96:97], v[108:109], s[22:23], v[164:165]
	v_add_f64_e32 v[40:41], v[92:93], v[40:41]
	v_fma_f64 v[92:93], v[12:13], s[8:9], v[146:147]
	v_add_f64_e64 v[8:9], v[8:9], -v[14:15]
	s_delay_alu instid0(VALU_DEP_4) | instskip(SKIP_4) | instid1(VALU_DEP_4)
	v_add_f64_e32 v[68:69], v[96:97], v[68:69]
	v_fma_f64 v[96:97], v[12:13], s[20:21], v[166:167]
	v_mul_f64_e32 v[12:13], s[8:9], v[16:17]
	v_add_f64_e32 v[40:41], v[94:95], v[40:41]
	v_fma_f64 v[94:95], v[24:25], s[20:21], v[157:158]
	v_add_f64_e32 v[70:71], v[96:97], v[70:71]
	v_fma_f64 v[96:97], v[110:111], s[46:47], v[168:169]
	v_add_f64_e64 v[12:13], v[12:13], -v[18:19]
	s_delay_alu instid0(VALU_DEP_2) | instskip(SKIP_1) | instid1(VALU_DEP_1)
	v_add_f64_e32 v[68:69], v[96:97], v[68:69]
	v_fma_f64 v[96:97], v[16:17], s[16:17], v[170:171]
	v_add_f64_e32 v[96:97], v[96:97], v[70:71]
	v_fma_f64 v[70:71], v[112:113], s[36:37], v[172:173]
	s_delay_alu instid0(VALU_DEP_1) | instskip(NEXT) | instid1(VALU_DEP_3)
	v_add_f64_e32 v[70:71], v[70:71], v[68:69]
	v_add_f64_e32 v[68:69], v[98:99], v[96:97]
	v_fma_f64 v[98:99], v[0:1], s[14:15], v[124:125]
	v_mul_f64_e32 v[0:1], s[16:17], v[0:1]
	v_fma_f64 v[96:97], v[112:113], s[22:23], v[153:154]
	s_delay_alu instid0(VALU_DEP_3) | instskip(NEXT) | instid1(VALU_DEP_3)
	v_add_f64_e32 v[98:99], v[98:99], v[130:131]
	v_add_f64_e64 v[0:1], v[0:1], -v[2:3]
	v_mul_f64_e32 v[2:3], s[14:15], v[28:29]
	s_delay_alu instid0(VALU_DEP_3) | instskip(NEXT) | instid1(VALU_DEP_3)
	v_add_f64_e32 v[42:43], v[42:43], v[98:99]
	v_add_f64_e32 v[0:1], v[0:1], v[138:139]
	s_delay_alu instid0(VALU_DEP_3) | instskip(NEXT) | instid1(VALU_DEP_3)
	v_add_f64_e32 v[2:3], v[30:31], v[2:3]
	v_add_f64_e32 v[42:43], v[92:93], v[42:43]
	s_delay_alu instid0(VALU_DEP_3)
	v_add_f64_e32 v[0:1], v[6:7], v[0:1]
	v_fma_f64 v[92:93], v[16:17], s[18:19], v[151:152]
	v_mul_f64_e32 v[6:7], s[2:3], v[36:37]
	v_add_f64_e32 v[2:3], v[2:3], v[4:5]
	v_mul_f64_e32 v[4:5], s[2:3], v[24:25]
	v_add_f64_e32 v[0:1], v[8:9], v[0:1]
	v_add_f64_e32 v[92:93], v[92:93], v[42:43]
	;; [unrolled: 1-line block ×4, first 2 shown]
	v_add_f64_e64 v[4:5], v[4:5], -v[26:27]
	v_add_f64_e32 v[42:43], v[96:97], v[40:41]
	v_mul_u32_u24_e32 v8, 13, v148
	s_delay_alu instid0(VALU_DEP_1) | instskip(SKIP_4) | instid1(VALU_DEP_4)
	v_lshl_add_u32 v8, v8, 4, v230
	v_add_f64_e32 v[0:1], v[12:13], v[0:1]
	v_add_f64_e32 v[40:41], v[94:95], v[92:93]
	;; [unrolled: 1-line block ×6, first 2 shown]
	ds_store_b128 v8, v[76:79] offset:32
	ds_store_b128 v8, v[80:83] offset:48
	;; [unrolled: 1-line block ×11, first 2 shown]
	ds_store_b128 v8, v[4:7]
	scratch_load_b128 v[0:3], off, off offset:12 ; 16-byte Folded Reload
	s_wait_loadcnt 0x0
	ds_store_b128 v8, v[0:3] offset:192
.LBB0_7:
	s_or_b32 exec_lo, exec_lo, s33
	scratch_load_b32 v124, off, off         ; 4-byte Folded Reload
	global_wb scope:SCOPE_SE
	s_wait_storecnt 0x0
	s_wait_loadcnt_dscnt 0x0
	s_barrier_signal -1
	s_barrier_wait -1
	global_inv scope:SCOPE_SE
	s_mov_b32 s2, 0x134454ff
	s_mov_b32 s3, 0x3fee6f0e
	;; [unrolled: 1-line block ×3, first 2 shown]
	s_wait_alu 0xfffe
	s_mov_b32 s8, s2
	s_mov_b32 s14, 0x4755a5e
	;; [unrolled: 1-line block ×4, first 2 shown]
	s_wait_alu 0xfffe
	s_mov_b32 s16, s14
	s_mov_b32 s18, 0x372fe950
	;; [unrolled: 1-line block ×3, first 2 shown]
	v_lshlrev_b32_e32 v44, 6, v124
	v_add_co_u32 v45, null, v124, 26
	v_add_co_u32 v49, null, v124, 39
	s_clause 0x3
	global_load_b128 v[68:71], v44, s[0:1]
	global_load_b128 v[64:67], v44, s[0:1] offset:16
	global_load_b128 v[60:63], v44, s[0:1] offset:32
	global_load_b128 v[56:59], v44, s[0:1] offset:48
	ds_load_b128 v[0:3], v156 offset:1040
	ds_load_b128 v[4:7], v156 offset:2080
	;; [unrolled: 1-line block ×5, first 2 shown]
	v_add_co_u32 v48, null, v124, 52
	s_wait_loadcnt_dscnt 0x304
	v_mul_f64_e32 v[20:21], v[2:3], v[70:71]
	v_mul_f64_e32 v[22:23], v[0:1], v[70:71]
	s_wait_loadcnt_dscnt 0x203
	v_mul_f64_e32 v[24:25], v[6:7], v[66:67]
	v_mul_f64_e32 v[26:27], v[4:5], v[66:67]
	;; [unrolled: 3-line block ×3, first 2 shown]
	v_fma_f64 v[92:93], v[0:1], v[68:69], -v[20:21]
	v_fma_f64 v[90:91], v[2:3], v[68:69], v[22:23]
	ds_load_b128 v[0:3], v156 offset:2288
	v_fma_f64 v[100:101], v[4:5], v[64:65], -v[24:25]
	v_fma_f64 v[96:97], v[6:7], v[64:65], v[26:27]
	ds_load_b128 v[4:7], v156 offset:3328
	v_fma_f64 v[98:99], v[8:9], v[60:61], -v[28:29]
	v_fma_f64 v[94:95], v[10:11], v[60:61], v[30:31]
	s_wait_dscnt 0x1
	v_mul_f64_e32 v[8:9], v[2:3], v[66:67]
	v_mul_f64_e32 v[10:11], v[0:1], v[66:67]
	v_add_f64_e64 v[54:55], v[92:93], -v[100:101]
	v_add_f64_e64 v[120:121], v[100:101], -v[98:99]
	v_add_f64_e32 v[108:109], v[96:97], v[94:95]
	v_add_f64_e64 v[114:115], v[96:97], -v[94:95]
	v_fma_f64 v[80:81], v[0:1], v[64:65], -v[8:9]
	v_fma_f64 v[78:79], v[2:3], v[64:65], v[10:11]
	ds_load_b128 v[0:3], v156 offset:4368
	s_wait_loadcnt 0x0
	v_mul_f64_e32 v[32:33], v[14:15], v[58:59]
	v_mul_f64_e32 v[34:35], v[12:13], v[58:59]
	s_delay_alu instid0(VALU_DEP_2) | instskip(SKIP_2) | instid1(VALU_DEP_3)
	v_fma_f64 v[112:113], v[12:13], v[56:57], -v[32:33]
	s_wait_dscnt 0x1
	v_mul_f64_e32 v[12:13], v[6:7], v[62:63]
	v_fma_f64 v[102:103], v[14:15], v[56:57], v[34:35]
	v_mul_f64_e32 v[14:15], v[4:5], v[62:63]
	s_delay_alu instid0(VALU_DEP_4) | instskip(NEXT) | instid1(VALU_DEP_4)
	v_add_f64_e64 v[118:119], v[92:93], -v[112:113]
	v_fma_f64 v[76:77], v[4:5], v[60:61], -v[12:13]
	s_wait_dscnt 0x0
	v_mul_f64_e32 v[4:5], v[2:3], v[58:59]
	s_delay_alu instid0(VALU_DEP_4) | instskip(SKIP_2) | instid1(VALU_DEP_4)
	v_fma_f64 v[42:43], v[6:7], v[60:61], v[14:15]
	v_mul_f64_e32 v[6:7], v[0:1], v[58:59]
	v_add_f64_e64 v[110:111], v[90:91], -v[102:103]
	v_fma_f64 v[84:85], v[0:1], v[56:57], -v[4:5]
	v_and_b32_e32 v0, 0xff, v45
	s_delay_alu instid0(VALU_DEP_4) | instskip(NEXT) | instid1(VALU_DEP_2)
	v_fma_f64 v[82:83], v[2:3], v[56:57], v[6:7]
	v_mul_lo_u16 v0, 0x4f, v0
	s_delay_alu instid0(VALU_DEP_1) | instskip(NEXT) | instid1(VALU_DEP_1)
	v_lshrrev_b16 v0, 10, v0
	v_mul_lo_u16 v0, v0, 13
	s_delay_alu instid0(VALU_DEP_1) | instskip(NEXT) | instid1(VALU_DEP_1)
	v_sub_nc_u16 v50, v45, v0
	v_lshlrev_b16 v0, 2, v50
	s_delay_alu instid0(VALU_DEP_1) | instskip(NEXT) | instid1(VALU_DEP_1)
	v_and_b32_e32 v0, 0xfc, v0
	v_lshlrev_b32_e32 v6, 4, v0
	ds_load_b128 v[0:3], v156 offset:1456
	v_mul_f64_e32 v[22:23], v[16:17], v[70:71]
	v_mul_f64_e32 v[20:21], v[18:19], v[70:71]
	global_load_b128 v[7:10], v6, s[0:1]
	v_fma_f64 v[40:41], v[18:19], v[68:69], v[22:23]
	v_fma_f64 v[46:47], v[16:17], v[68:69], -v[20:21]
	s_wait_loadcnt_dscnt 0x0
	v_mul_f64_e32 v[4:5], v[2:3], v[9:10]
	scratch_store_b128 off, v[7:10], off offset:244 ; 16-byte Folded Spill
	v_fma_f64 v[14:15], v[0:1], v[7:8], -v[4:5]
	v_mul_f64_e32 v[0:1], v[0:1], v[9:10]
	s_delay_alu instid0(VALU_DEP_1)
	v_fma_f64 v[12:13], v[2:3], v[7:8], v[0:1]
	global_load_b128 v[7:10], v6, s[0:1] offset:16
	ds_load_b128 v[0:3], v156 offset:2496
	s_wait_loadcnt_dscnt 0x0
	v_mul_f64_e32 v[4:5], v[2:3], v[9:10]
	scratch_store_b128 off, v[7:10], off offset:376 ; 16-byte Folded Spill
	v_fma_f64 v[28:29], v[0:1], v[7:8], -v[4:5]
	v_mul_f64_e32 v[0:1], v[0:1], v[9:10]
	s_delay_alu instid0(VALU_DEP_1)
	v_fma_f64 v[30:31], v[2:3], v[7:8], v[0:1]
	global_load_b128 v[7:10], v6, s[0:1] offset:32
	ds_load_b128 v[0:3], v156 offset:3536
	;; [unrolled: 9-line block ×3, first 2 shown]
	s_wait_loadcnt_dscnt 0x0
	v_mul_f64_e32 v[4:5], v[2:3], v[8:9]
	scratch_store_b128 off, v[6:9], off offset:428 ; 16-byte Folded Spill
	v_fma_f64 v[86:87], v[0:1], v[6:7], -v[4:5]
	v_mul_f64_e32 v[0:1], v[0:1], v[8:9]
	s_delay_alu instid0(VALU_DEP_1) | instskip(SKIP_1) | instid1(VALU_DEP_1)
	v_fma_f64 v[88:89], v[2:3], v[6:7], v[0:1]
	v_and_b32_e32 v0, 0xff, v49
	v_mul_lo_u16 v0, 0x4f, v0
	s_delay_alu instid0(VALU_DEP_1) | instskip(NEXT) | instid1(VALU_DEP_1)
	v_lshrrev_b16 v0, 10, v0
	v_mul_lo_u16 v0, v0, 13
	s_delay_alu instid0(VALU_DEP_1) | instskip(NEXT) | instid1(VALU_DEP_1)
	v_sub_nc_u16 v51, v49, v0
	v_lshlrev_b16 v0, 2, v51
	s_delay_alu instid0(VALU_DEP_1) | instskip(NEXT) | instid1(VALU_DEP_1)
	v_and_b32_e32 v0, 0xfc, v0
	v_lshlrev_b32_e32 v6, 4, v0
	ds_load_b128 v[0:3], v156 offset:1664
	global_load_b128 v[7:10], v6, s[0:1]
	s_wait_loadcnt_dscnt 0x0
	v_mul_f64_e32 v[4:5], v[2:3], v[9:10]
	scratch_store_b128 off, v[7:10], off offset:540 ; 16-byte Folded Spill
	v_fma_f64 v[18:19], v[0:1], v[7:8], -v[4:5]
	v_mul_f64_e32 v[0:1], v[0:1], v[9:10]
	s_delay_alu instid0(VALU_DEP_1)
	v_fma_f64 v[16:17], v[2:3], v[7:8], v[0:1]
	global_load_b128 v[7:10], v6, s[0:1] offset:16
	ds_load_b128 v[0:3], v156 offset:2704
	s_wait_loadcnt_dscnt 0x0
	v_mul_f64_e32 v[4:5], v[2:3], v[9:10]
	scratch_store_b128 off, v[7:10], off offset:508 ; 16-byte Folded Spill
	v_fma_f64 v[20:21], v[0:1], v[7:8], -v[4:5]
	v_mul_f64_e32 v[0:1], v[0:1], v[9:10]
	s_delay_alu instid0(VALU_DEP_1)
	v_fma_f64 v[22:23], v[2:3], v[7:8], v[0:1]
	global_load_b128 v[7:10], v6, s[0:1] offset:32
	ds_load_b128 v[0:3], v156 offset:3744
	;; [unrolled: 9-line block ×3, first 2 shown]
	s_wait_loadcnt_dscnt 0x0
	v_mul_f64_e32 v[4:5], v[2:3], v[8:9]
	scratch_store_b128 off, v[6:9], off offset:476 ; 16-byte Folded Spill
	v_fma_f64 v[32:33], v[0:1], v[6:7], -v[4:5]
	v_mul_f64_e32 v[0:1], v[0:1], v[8:9]
	s_delay_alu instid0(VALU_DEP_1) | instskip(SKIP_3) | instid1(VALU_DEP_1)
	v_fma_f64 v[34:35], v[2:3], v[6:7], v[0:1]
	v_and_b32_e32 v0, 0xff, v48
	ds_load_b128 v[4:7], v156 offset:1872
	v_mul_lo_u16 v0, 0x4f, v0
	v_lshrrev_b16 v0, 10, v0
	s_delay_alu instid0(VALU_DEP_1) | instskip(NEXT) | instid1(VALU_DEP_1)
	v_mul_lo_u16 v0, v0, 13
	v_sub_nc_u16 v52, v48, v0
	s_delay_alu instid0(VALU_DEP_1) | instskip(NEXT) | instid1(VALU_DEP_1)
	v_lshlrev_b16 v0, 2, v52
	v_and_b32_e32 v0, 0xfc, v0
	s_delay_alu instid0(VALU_DEP_1)
	v_lshlrev_b32_e32 v53, 4, v0
	s_clause 0x3
	global_load_b128 v[8:11], v53, s[0:1]
	global_load_b128 v[72:75], v53, s[0:1] offset:16
	global_load_b128 v[104:107], v53, s[0:1] offset:32
	;; [unrolled: 1-line block ×3, first 2 shown]
	s_wait_loadcnt_dscnt 0x300
	v_mul_f64_e32 v[0:1], v[6:7], v[10:11]
	scratch_store_b128 off, v[8:11], off offset:524 ; 16-byte Folded Spill
	s_wait_loadcnt 0x2
	scratch_store_b128 off, v[72:75], off offset:460 ; 16-byte Folded Spill
	s_wait_loadcnt 0x1
	scratch_store_b128 off, v[104:107], off offset:444 ; 16-byte Folded Spill
	v_fma_f64 v[2:3], v[4:5], v[8:9], -v[0:1]
	v_mul_f64_e32 v[0:1], v[4:5], v[10:11]
	s_delay_alu instid0(VALU_DEP_1) | instskip(SKIP_3) | instid1(VALU_DEP_1)
	v_fma_f64 v[0:1], v[6:7], v[8:9], v[0:1]
	ds_load_b128 v[6:9], v156 offset:2912
	s_wait_dscnt 0x0
	v_mul_f64_e32 v[4:5], v[8:9], v[74:75]
	v_fma_f64 v[4:5], v[6:7], v[72:73], -v[4:5]
	v_mul_f64_e32 v[6:7], v[6:7], v[74:75]
	s_delay_alu instid0(VALU_DEP_1)
	v_fma_f64 v[6:7], v[8:9], v[72:73], v[6:7]
	ds_load_b128 v[72:75], v156 offset:3952
	s_wait_dscnt 0x0
	v_mul_f64_e32 v[8:9], v[74:75], v[106:107]
	v_mul_f64_e32 v[10:11], v[72:73], v[106:107]
	v_add_f64_e32 v[106:107], v[100:101], v[98:99]
	s_delay_alu instid0(VALU_DEP_3) | instskip(SKIP_1) | instid1(VALU_DEP_4)
	v_fma_f64 v[8:9], v[72:73], v[104:105], -v[8:9]
	v_add_f64_e64 v[72:73], v[112:113], -v[98:99]
	v_fma_f64 v[10:11], v[74:75], v[104:105], v[10:11]
	v_add_f64_e64 v[74:75], v[102:103], -v[94:95]
	s_delay_alu instid0(VALU_DEP_3) | instskip(SKIP_1) | instid1(VALU_DEP_1)
	v_add_f64_e32 v[54:55], v[54:55], v[72:73]
	v_add_f64_e64 v[72:73], v[90:91], -v[96:97]
	v_add_f64_e32 v[104:105], v[72:73], v[74:75]
	ds_load_b128 v[72:75], v156
	s_wait_dscnt 0x0
	v_fma_f64 v[108:109], v[108:109], -0.5, v[74:75]
	v_fma_f64 v[106:107], v[106:107], -0.5, v[72:73]
	s_delay_alu instid0(VALU_DEP_2) | instskip(SKIP_1) | instid1(VALU_DEP_3)
	v_fma_f64 v[122:123], v[118:119], s[8:9], v[108:109]
	v_fma_f64 v[108:109], v[118:119], s[2:3], v[108:109]
	;; [unrolled: 1-line block ×4, first 2 shown]
	s_wait_alu 0xfffe
	s_delay_alu instid0(VALU_DEP_4) | instskip(NEXT) | instid1(VALU_DEP_4)
	v_fma_f64 v[122:123], v[120:121], s[16:17], v[122:123]
	v_fma_f64 v[108:109], v[120:121], s[14:15], v[108:109]
	s_delay_alu instid0(VALU_DEP_4) | instskip(NEXT) | instid1(VALU_DEP_4)
	v_fma_f64 v[116:117], v[114:115], s[14:15], v[116:117]
	v_fma_f64 v[106:107], v[114:115], s[16:17], v[106:107]
	;; [unrolled: 3-line block ×3, first 2 shown]
	v_add_f64_e32 v[104:105], v[90:91], v[102:103]
	v_fma_f64 v[149:150], v[54:55], s[18:19], v[116:117]
	v_fma_f64 v[160:161], v[54:55], s[18:19], v[106:107]
	v_add_f64_e32 v[54:55], v[92:93], v[112:113]
	v_add_f64_e32 v[106:107], v[78:79], v[42:43]
	v_add_f64_e64 v[108:109], v[40:41], -v[82:83]
	v_add_f64_e64 v[116:117], v[46:47], -v[84:85]
	v_fma_f64 v[104:105], v[104:105], -0.5, v[74:75]
	v_add_f64_e32 v[74:75], v[74:75], v[90:91]
	v_add_f64_e64 v[90:91], v[96:97], -v[90:91]
	v_fma_f64 v[54:55], v[54:55], -0.5, v[72:73]
	v_add_f64_e32 v[72:73], v[72:73], v[92:93]
	v_add_f64_e64 v[92:93], v[100:101], -v[92:93]
	v_add_f64_e32 v[74:75], v[74:75], v[96:97]
	v_add_f64_e64 v[96:97], v[98:99], -v[112:113]
	s_delay_alu instid0(VALU_DEP_4) | instskip(SKIP_1) | instid1(VALU_DEP_4)
	v_add_f64_e32 v[72:73], v[72:73], v[100:101]
	v_fma_f64 v[100:101], v[120:121], s[2:3], v[104:105]
	v_add_f64_e32 v[74:75], v[74:75], v[94:95]
	v_add_f64_e64 v[94:95], v[94:95], -v[102:103]
	v_add_f64_e32 v[96:97], v[92:93], v[96:97]
	v_add_f64_e32 v[72:73], v[72:73], v[98:99]
	v_fma_f64 v[98:99], v[114:115], s[8:9], v[54:55]
	v_fma_f64 v[54:55], v[114:115], s[2:3], v[54:55]
	;; [unrolled: 1-line block ×3, first 2 shown]
	v_add_f64_e64 v[100:101], v[82:83], -v[42:43]
	v_add_f64_e32 v[74:75], v[74:75], v[102:103]
	v_fma_f64 v[102:103], v[120:121], s[8:9], v[104:105]
	v_add_f64_e32 v[104:105], v[90:91], v[94:95]
	v_add_f64_e32 v[72:73], v[72:73], v[112:113]
	v_fma_f64 v[90:91], v[110:111], s[14:15], v[98:99]
	v_fma_f64 v[54:55], v[110:111], s[16:17], v[54:55]
	v_add_f64_e64 v[110:111], v[78:79], -v[42:43]
	v_fma_f64 v[98:99], v[118:119], s[14:15], v[102:103]
	v_fma_f64 v[92:93], v[104:105], s[18:19], v[92:93]
	v_add_f64_e64 v[118:119], v[80:81], -v[76:77]
	;; [unrolled: 3-line block ×3, first 2 shown]
	v_fma_f64 v[96:97], v[104:105], s[18:19], v[98:99]
	v_add_f64_e64 v[98:99], v[84:85], -v[76:77]
	v_add_f64_e32 v[104:105], v[80:81], v[76:77]
	s_delay_alu instid0(VALU_DEP_2) | instskip(SKIP_1) | instid1(VALU_DEP_1)
	v_add_f64_e32 v[54:55], v[54:55], v[98:99]
	v_add_f64_e64 v[98:99], v[40:41], -v[78:79]
	v_add_f64_e32 v[102:103], v[98:99], v[100:101]
	ds_load_b128 v[98:101], v156 offset:208
	s_wait_dscnt 0x0
	v_fma_f64 v[104:105], v[104:105], -0.5, v[98:99]
	v_fma_f64 v[106:107], v[106:107], -0.5, v[100:101]
	s_delay_alu instid0(VALU_DEP_2) | instskip(NEXT) | instid1(VALU_DEP_2)
	v_fma_f64 v[112:113], v[108:109], s[2:3], v[104:105]
	v_fma_f64 v[114:115], v[116:117], s[8:9], v[106:107]
	;; [unrolled: 1-line block ×4, first 2 shown]
	s_delay_alu instid0(VALU_DEP_4) | instskip(NEXT) | instid1(VALU_DEP_4)
	v_fma_f64 v[112:113], v[110:111], s[14:15], v[112:113]
	v_fma_f64 v[114:115], v[118:119], s[16:17], v[114:115]
	s_delay_alu instid0(VALU_DEP_4) | instskip(NEXT) | instid1(VALU_DEP_4)
	v_fma_f64 v[104:105], v[110:111], s[16:17], v[104:105]
	v_fma_f64 v[106:107], v[118:119], s[14:15], v[106:107]
	s_delay_alu instid0(VALU_DEP_4) | instskip(NEXT) | instid1(VALU_DEP_4)
	v_fma_f64 v[112:113], v[54:55], s[18:19], v[112:113]
	v_fma_f64 v[114:115], v[102:103], s[18:19], v[114:115]
	s_delay_alu instid0(VALU_DEP_4) | instskip(NEXT) | instid1(VALU_DEP_4)
	v_fma_f64 v[164:165], v[54:55], s[18:19], v[104:105]
	v_fma_f64 v[166:167], v[102:103], s[18:19], v[106:107]
	v_add_f64_e32 v[54:55], v[46:47], v[84:85]
	v_add_f64_e32 v[102:103], v[40:41], v[82:83]
	v_add_f64_e64 v[104:105], v[20:21], -v[18:19]
	s_delay_alu instid0(VALU_DEP_3) | instskip(NEXT) | instid1(VALU_DEP_3)
	v_fma_f64 v[54:55], v[54:55], -0.5, v[98:99]
	v_fma_f64 v[102:103], v[102:103], -0.5, v[100:101]
	v_add_f64_e32 v[98:99], v[98:99], v[46:47]
	v_add_f64_e32 v[100:101], v[100:101], v[40:41]
	v_add_f64_e64 v[46:47], v[80:81], -v[46:47]
	v_add_f64_e64 v[40:41], v[78:79], -v[40:41]
	s_delay_alu instid0(VALU_DEP_4) | instskip(NEXT) | instid1(VALU_DEP_4)
	v_add_f64_e32 v[80:81], v[98:99], v[80:81]
	v_add_f64_e32 v[98:99], v[100:101], v[78:79]
	s_delay_alu instid0(VALU_DEP_2) | instskip(NEXT) | instid1(VALU_DEP_2)
	v_add_f64_e32 v[78:79], v[80:81], v[76:77]
	v_add_f64_e32 v[80:81], v[98:99], v[42:43]
	v_add_f64_e64 v[98:99], v[76:77], -v[84:85]
	v_add_f64_e64 v[42:43], v[42:43], -v[82:83]
	s_delay_alu instid0(VALU_DEP_4) | instskip(NEXT) | instid1(VALU_DEP_4)
	v_add_f64_e32 v[76:77], v[78:79], v[84:85]
	v_add_f64_e32 v[78:79], v[80:81], v[82:83]
	v_fma_f64 v[82:83], v[118:119], s[2:3], v[102:103]
	v_fma_f64 v[84:85], v[118:119], s[8:9], v[102:103]
	;; [unrolled: 1-line block ×4, first 2 shown]
	v_add_f64_e32 v[46:47], v[46:47], v[98:99]
	v_add_f64_e32 v[98:99], v[40:41], v[42:43]
	v_fma_f64 v[42:43], v[116:117], s[16:17], v[82:83]
	v_fma_f64 v[82:83], v[116:117], s[14:15], v[84:85]
	;; [unrolled: 1-line block ×4, first 2 shown]
	v_add_f64_e64 v[84:85], v[14:15], -v[86:87]
	v_fma_f64 v[42:43], v[98:99], s[18:19], v[42:43]
	v_fma_f64 v[82:83], v[98:99], s[18:19], v[82:83]
	ds_load_b128 v[98:101], v156 offset:4992
	v_fma_f64 v[40:41], v[46:47], s[18:19], v[40:41]
	v_fma_f64 v[80:81], v[46:47], s[18:19], v[54:55]
	s_wait_loadcnt_dscnt 0x0
	v_mul_f64_e32 v[46:47], v[100:101], v[198:199]
	v_mul_f64_e32 v[53:54], v[98:99], v[198:199]
	s_delay_alu instid0(VALU_DEP_2) | instskip(NEXT) | instid1(VALU_DEP_2)
	v_fma_f64 v[46:47], v[98:99], v[196:197], -v[46:47]
	v_fma_f64 v[53:54], v[100:101], v[196:197], v[53:54]
	ds_load_b128 v[98:101], v156 offset:832
	ds_load_b128 v[168:171], v156 offset:416
	;; [unrolled: 1-line block ×3, first 2 shown]
	global_wb scope:SCOPE_SE
	s_wait_storecnt_dscnt 0x0
	s_barrier_signal -1
	s_barrier_wait -1
	global_inv scope:SCOPE_SE
	ds_store_b128 v156, v[72:75]
	ds_store_b128 v156, v[76:79] offset:1040
	ds_store_b128 v156, v[149:152] offset:208
	;; [unrolled: 1-line block ×9, first 2 shown]
	v_add_f64_e64 v[40:41], v[14:15], -v[28:29]
	v_add_f64_e64 v[42:43], v[86:87], -v[38:39]
	;; [unrolled: 1-line block ×6, first 2 shown]
	v_add_f64_e32 v[92:93], v[168:169], v[14:15]
	v_add_f64_e32 v[94:95], v[170:171], v[12:13]
	;; [unrolled: 1-line block ×4, first 2 shown]
	v_add_f64_e64 v[40:41], v[12:13], -v[30:31]
	v_add_f64_e64 v[42:43], v[88:89], -v[36:37]
	s_delay_alu instid0(VALU_DEP_1) | instskip(SKIP_1) | instid1(VALU_DEP_1)
	v_add_f64_e32 v[74:75], v[40:41], v[42:43]
	v_add_f64_e32 v[40:41], v[28:29], v[38:39]
	v_fma_f64 v[76:77], v[40:41], -0.5, v[168:169]
	v_add_f64_e32 v[40:41], v[30:31], v[36:37]
	s_delay_alu instid0(VALU_DEP_1) | instskip(NEXT) | instid1(VALU_DEP_3)
	v_fma_f64 v[78:79], v[40:41], -0.5, v[170:171]
	v_fma_f64 v[40:41], v[80:81], s[2:3], v[76:77]
	v_fma_f64 v[76:77], v[80:81], s[8:9], v[76:77]
	s_delay_alu instid0(VALU_DEP_3) | instskip(SKIP_1) | instid1(VALU_DEP_4)
	v_fma_f64 v[42:43], v[84:85], s[8:9], v[78:79]
	v_fma_f64 v[78:79], v[84:85], s[2:3], v[78:79]
	v_fma_f64 v[40:41], v[82:83], s[14:15], v[40:41]
	s_delay_alu instid0(VALU_DEP_4) | instskip(NEXT) | instid1(VALU_DEP_4)
	v_fma_f64 v[76:77], v[82:83], s[16:17], v[76:77]
	v_fma_f64 v[42:43], v[90:91], s[16:17], v[42:43]
	s_delay_alu instid0(VALU_DEP_4) | instskip(NEXT) | instid1(VALU_DEP_4)
	v_fma_f64 v[78:79], v[90:91], s[14:15], v[78:79]
	v_fma_f64 v[40:41], v[72:73], s[18:19], v[40:41]
	s_delay_alu instid0(VALU_DEP_4)
	v_fma_f64 v[72:73], v[72:73], s[18:19], v[76:77]
	v_add_f64_e32 v[76:77], v[14:15], v[86:87]
	v_add_f64_e32 v[14:15], v[92:93], v[28:29]
	;; [unrolled: 1-line block ×3, first 2 shown]
	v_add_f64_e64 v[30:31], v[30:31], -v[12:13]
	v_add_f64_e64 v[92:93], v[18:19], -v[32:33]
	;; [unrolled: 1-line block ×3, first 2 shown]
	v_fma_f64 v[42:43], v[74:75], s[18:19], v[42:43]
	v_fma_f64 v[74:75], v[74:75], s[18:19], v[78:79]
	v_add_f64_e32 v[78:79], v[12:13], v[88:89]
	v_fma_f64 v[76:77], v[76:77], -0.5, v[168:169]
	v_add_f64_e32 v[12:13], v[14:15], v[38:39]
	v_add_f64_e32 v[14:15], v[28:29], v[36:37]
	v_add_f64_e64 v[28:29], v[38:39], -v[86:87]
	v_add_f64_e64 v[36:37], v[36:37], -v[88:89]
	v_fma_f64 v[78:79], v[78:79], -0.5, v[170:171]
	v_fma_f64 v[38:39], v[82:83], s[8:9], v[76:77]
	v_fma_f64 v[76:77], v[82:83], s[2:3], v[76:77]
	v_add_f64_e32 v[12:13], v[12:13], v[86:87]
	v_add_f64_e32 v[14:15], v[14:15], v[88:89]
	;; [unrolled: 1-line block ×5, first 2 shown]
	v_fma_f64 v[82:83], v[90:91], s[2:3], v[78:79]
	v_fma_f64 v[78:79], v[90:91], s[8:9], v[78:79]
	;; [unrolled: 1-line block ×4, first 2 shown]
	v_add_f64_e64 v[76:77], v[18:19], -v[20:21]
	v_add_f64_e64 v[90:91], v[22:23], -v[24:25]
	v_fma_f64 v[30:31], v[84:85], s[16:17], v[82:83]
	v_fma_f64 v[38:39], v[84:85], s[14:15], v[78:79]
	v_add_f64_e64 v[78:79], v[32:33], -v[26:27]
	v_fma_f64 v[28:29], v[86:87], s[18:19], v[28:29]
	v_fma_f64 v[36:37], v[86:87], s[18:19], v[36:37]
	;; [unrolled: 1-line block ×4, first 2 shown]
	v_add_f64_e32 v[80:81], v[76:77], v[78:79]
	v_add_f64_e64 v[76:77], v[16:17], -v[22:23]
	v_add_f64_e64 v[78:79], v[34:35], -v[24:25]
	;; [unrolled: 1-line block ×3, first 2 shown]
	s_delay_alu instid0(VALU_DEP_2) | instskip(SKIP_1) | instid1(VALU_DEP_1)
	v_add_f64_e32 v[82:83], v[76:77], v[78:79]
	v_add_f64_e32 v[76:77], v[20:21], v[26:27]
	v_fma_f64 v[84:85], v[76:77], -0.5, v[172:173]
	v_add_f64_e32 v[76:77], v[22:23], v[24:25]
	s_delay_alu instid0(VALU_DEP_1) | instskip(NEXT) | instid1(VALU_DEP_3)
	v_fma_f64 v[86:87], v[76:77], -0.5, v[174:175]
	v_fma_f64 v[76:77], v[88:89], s[2:3], v[84:85]
	v_fma_f64 v[84:85], v[88:89], s[8:9], v[84:85]
	s_delay_alu instid0(VALU_DEP_3) | instskip(SKIP_1) | instid1(VALU_DEP_4)
	v_fma_f64 v[78:79], v[92:93], s[8:9], v[86:87]
	v_fma_f64 v[86:87], v[92:93], s[2:3], v[86:87]
	;; [unrolled: 1-line block ×3, first 2 shown]
	s_delay_alu instid0(VALU_DEP_4) | instskip(NEXT) | instid1(VALU_DEP_4)
	v_fma_f64 v[84:85], v[90:91], s[16:17], v[84:85]
	v_fma_f64 v[78:79], v[94:95], s[16:17], v[78:79]
	s_delay_alu instid0(VALU_DEP_4) | instskip(NEXT) | instid1(VALU_DEP_4)
	v_fma_f64 v[86:87], v[94:95], s[14:15], v[86:87]
	v_fma_f64 v[76:77], v[80:81], s[18:19], v[76:77]
	s_delay_alu instid0(VALU_DEP_4)
	v_fma_f64 v[80:81], v[80:81], s[18:19], v[84:85]
	v_add_f64_e32 v[84:85], v[18:19], v[32:33]
	v_add_f64_e32 v[18:19], v[96:97], v[20:21]
	;; [unrolled: 1-line block ×3, first 2 shown]
	v_add_f64_e64 v[22:23], v[22:23], -v[16:17]
	v_add_f64_e64 v[96:97], v[4:5], -v[8:9]
	;; [unrolled: 1-line block ×3, first 2 shown]
	v_fma_f64 v[78:79], v[82:83], s[18:19], v[78:79]
	v_fma_f64 v[82:83], v[82:83], s[18:19], v[86:87]
	v_add_f64_e32 v[86:87], v[16:17], v[34:35]
	v_fma_f64 v[84:85], v[84:85], -0.5, v[172:173]
	v_add_f64_e32 v[16:17], v[18:19], v[26:27]
	v_add_f64_e32 v[18:19], v[20:21], v[24:25]
	v_add_f64_e64 v[20:21], v[26:27], -v[32:33]
	v_add_f64_e64 v[24:25], v[24:25], -v[34:35]
	v_fma_f64 v[86:87], v[86:87], -0.5, v[174:175]
	v_fma_f64 v[26:27], v[90:91], s[8:9], v[84:85]
	v_add_f64_e32 v[16:17], v[16:17], v[32:33]
	v_add_f64_e32 v[18:19], v[18:19], v[34:35]
	v_fma_f64 v[32:33], v[90:91], s[2:3], v[84:85]
	v_add_f64_e32 v[90:91], v[22:23], v[24:25]
	v_fma_f64 v[34:35], v[94:95], s[2:3], v[86:87]
	v_fma_f64 v[84:85], v[94:95], s[8:9], v[86:87]
	v_add_f64_e32 v[86:87], v[104:105], v[20:21]
	v_fma_f64 v[20:21], v[88:89], s[14:15], v[26:27]
	v_add_f64_e64 v[94:95], v[0:1], -v[53:54]
	v_fma_f64 v[24:25], v[88:89], s[16:17], v[32:33]
	v_add_f64_e64 v[32:33], v[4:5], -v[2:3]
	v_add_f64_e64 v[104:105], v[2:3], -v[4:5]
	v_fma_f64 v[22:23], v[92:93], s[16:17], v[34:35]
	v_add_f64_e64 v[34:35], v[8:9], -v[46:47]
	v_fma_f64 v[26:27], v[92:93], s[14:15], v[84:85]
	v_fma_f64 v[20:21], v[86:87], s[18:19], v[20:21]
	v_add_f64_e64 v[92:93], v[6:7], -v[10:11]
	v_fma_f64 v[24:25], v[86:87], s[18:19], v[24:25]
	v_fma_f64 v[22:23], v[90:91], s[18:19], v[22:23]
	v_add_f64_e32 v[84:85], v[32:33], v[34:35]
	v_add_f64_e64 v[32:33], v[6:7], -v[0:1]
	v_add_f64_e64 v[34:35], v[10:11], -v[53:54]
	v_fma_f64 v[26:27], v[90:91], s[18:19], v[26:27]
	s_delay_alu instid0(VALU_DEP_2) | instskip(SKIP_1) | instid1(VALU_DEP_1)
	v_add_f64_e32 v[86:87], v[32:33], v[34:35]
	v_add_f64_e32 v[32:33], v[2:3], v[46:47]
	v_fma_f64 v[88:89], v[32:33], -0.5, v[98:99]
	v_add_f64_e32 v[32:33], v[0:1], v[53:54]
	s_delay_alu instid0(VALU_DEP_1) | instskip(NEXT) | instid1(VALU_DEP_3)
	v_fma_f64 v[90:91], v[32:33], -0.5, v[100:101]
	v_fma_f64 v[32:33], v[92:93], s[8:9], v[88:89]
	v_fma_f64 v[88:89], v[92:93], s[2:3], v[88:89]
	s_delay_alu instid0(VALU_DEP_3) | instskip(SKIP_1) | instid1(VALU_DEP_4)
	v_fma_f64 v[34:35], v[96:97], s[2:3], v[90:91]
	v_fma_f64 v[90:91], v[96:97], s[8:9], v[90:91]
	;; [unrolled: 1-line block ×3, first 2 shown]
	s_delay_alu instid0(VALU_DEP_4) | instskip(NEXT) | instid1(VALU_DEP_4)
	v_fma_f64 v[88:89], v[94:95], s[16:17], v[88:89]
	v_fma_f64 v[34:35], v[102:103], s[16:17], v[34:35]
	s_delay_alu instid0(VALU_DEP_4) | instskip(NEXT) | instid1(VALU_DEP_4)
	v_fma_f64 v[90:91], v[102:103], s[14:15], v[90:91]
	v_fma_f64 v[32:33], v[84:85], s[18:19], v[32:33]
	s_delay_alu instid0(VALU_DEP_4) | instskip(SKIP_4) | instid1(VALU_DEP_4)
	v_fma_f64 v[84:85], v[84:85], s[18:19], v[88:89]
	v_add_f64_e32 v[88:89], v[4:5], v[8:9]
	v_fma_f64 v[34:35], v[86:87], s[18:19], v[34:35]
	v_fma_f64 v[86:87], v[86:87], s[18:19], v[90:91]
	v_add_f64_e32 v[90:91], v[6:7], v[10:11]
	v_fma_f64 v[88:89], v[88:89], -0.5, v[98:99]
	v_add_f64_e32 v[98:99], v[98:99], v[2:3]
	s_delay_alu instid0(VALU_DEP_3) | instskip(SKIP_1) | instid1(VALU_DEP_3)
	v_fma_f64 v[90:91], v[90:91], -0.5, v[100:101]
	v_add_f64_e32 v[100:101], v[100:101], v[0:1]
	v_add_f64_e32 v[2:3], v[98:99], v[4:5]
	s_delay_alu instid0(VALU_DEP_2) | instskip(SKIP_1) | instid1(VALU_DEP_3)
	v_add_f64_e32 v[4:5], v[100:101], v[6:7]
	v_add_f64_e64 v[6:7], v[0:1], -v[6:7]
	v_add_f64_e32 v[0:1], v[2:3], v[8:9]
	s_delay_alu instid0(VALU_DEP_3) | instskip(SKIP_1) | instid1(VALU_DEP_3)
	v_add_f64_e32 v[2:3], v[4:5], v[10:11]
	v_add_f64_e64 v[4:5], v[46:47], -v[8:9]
	v_add_f64_e32 v[0:1], v[0:1], v[46:47]
	v_add_f64_e64 v[8:9], v[53:54], -v[10:11]
	v_fma_f64 v[10:11], v[94:95], s[2:3], v[88:89]
	v_fma_f64 v[46:47], v[94:95], s[8:9], v[88:89]
	;; [unrolled: 1-line block ×3, first 2 shown]
	v_add_f64_e32 v[2:3], v[2:3], v[53:54]
	v_fma_f64 v[53:54], v[102:103], s[8:9], v[90:91]
	v_add_f64_e32 v[90:91], v[104:105], v[4:5]
	v_add_f64_e32 v[94:95], v[6:7], v[8:9]
	v_fma_f64 v[4:5], v[92:93], s[14:15], v[10:11]
	v_fma_f64 v[8:9], v[92:93], s[16:17], v[46:47]
	;; [unrolled: 1-line block ×3, first 2 shown]
	v_and_b32_e32 v46, 0xff, v50
	s_delay_alu instid0(VALU_DEP_1) | instskip(SKIP_2) | instid1(VALU_DEP_1)
	v_lshl_add_u32 v158, v46, 4, v230
	ds_store_b128 v158, v[12:15] offset:2080
	v_and_b32_e32 v12, 0xff, v51
	v_lshl_add_u32 v13, v12, 4, v230
	v_and_b32_e32 v12, 0xff, v52
	ds_store_b128 v13, v[16:19] offset:3120
	v_lshl_add_u32 v12, v12, 4, v230
	ds_store_b128 v12, v[0:3] offset:4160
	ds_store_b128 v158, v[40:43] offset:2288
	;; [unrolled: 1-line block ×8, first 2 shown]
	v_fma_f64 v[6:7], v[96:97], s[16:17], v[53:54]
	scratch_store_b32 off, v13, off offset:392 ; 4-byte Folded Spill
	v_fma_f64 v[4:5], v[90:91], s[18:19], v[4:5]
	v_fma_f64 v[8:9], v[90:91], s[18:19], v[8:9]
	;; [unrolled: 1-line block ×4, first 2 shown]
	ds_store_b128 v13, v[80:83] offset:3952
	ds_store_b128 v12, v[4:7] offset:4368
	;; [unrolled: 1-line block ×4, first 2 shown]
	scratch_store_b32 off, v12, off offset:260 ; 4-byte Folded Spill
	ds_store_b128 v12, v[8:11] offset:4992
	global_wb scope:SCOPE_SE
	s_wait_storecnt_dscnt 0x0
	s_barrier_signal -1
	s_barrier_wait -1
	global_inv scope:SCOPE_SE
	s_clause 0x3
	global_load_b128 v[6:9], v44, s[0:1] offset:832
	global_load_b128 v[184:187], v44, s[0:1] offset:848
	;; [unrolled: 1-line block ×4, first 2 shown]
	ds_load_b128 v[0:3], v156 offset:1040
	s_wait_loadcnt_dscnt 0x300
	v_mul_f64_e32 v[4:5], v[2:3], v[8:9]
	scratch_store_b128 off, v[6:9], off offset:264 ; 16-byte Folded Spill
	v_fma_f64 v[12:13], v[0:1], v[6:7], -v[4:5]
	v_mul_f64_e32 v[0:1], v[0:1], v[8:9]
	s_delay_alu instid0(VALU_DEP_1)
	v_fma_f64 v[14:15], v[2:3], v[6:7], v[0:1]
	v_lshlrev_b32_e32 v6, 6, v148
	ds_load_b128 v[0:3], v156 offset:2080
	s_clause 0x3
	global_load_b128 v[176:179], v6, s[0:1] offset:832
	global_load_b128 v[172:175], v6, s[0:1] offset:848
	;; [unrolled: 1-line block ×4, first 2 shown]
	v_lshlrev_b32_e32 v6, 6, v45
	s_clause 0x3
	global_load_b128 v[180:183], v6, s[0:1] offset:832
	global_load_b128 v[152:155], v6, s[0:1] offset:848
	;; [unrolled: 1-line block ×4, first 2 shown]
	v_lshlrev_b32_e32 v6, 6, v49
	s_wait_loadcnt_dscnt 0xa00
	v_mul_f64_e32 v[4:5], v[2:3], v[186:187]
	s_clause 0x1
	global_load_b128 v[160:163], v6, s[0:1] offset:832
	global_load_b128 v[7:10], v6, s[0:1] offset:848
	v_fma_f64 v[16:17], v[0:1], v[184:185], -v[4:5]
	v_mul_f64_e32 v[0:1], v[0:1], v[186:187]
	s_delay_alu instid0(VALU_DEP_1) | instskip(SKIP_3) | instid1(VALU_DEP_1)
	v_fma_f64 v[18:19], v[2:3], v[184:185], v[0:1]
	ds_load_b128 v[0:3], v156 offset:3120
	s_wait_loadcnt_dscnt 0xb00
	v_mul_f64_e32 v[4:5], v[2:3], v[194:195]
	v_fma_f64 v[20:21], v[0:1], v[192:193], -v[4:5]
	v_mul_f64_e32 v[0:1], v[0:1], v[194:195]
	s_delay_alu instid0(VALU_DEP_2) | instskip(NEXT) | instid1(VALU_DEP_2)
	v_add_f64_e64 v[122:123], v[16:17], -v[20:21]
	v_fma_f64 v[22:23], v[2:3], v[192:193], v[0:1]
	ds_load_b128 v[0:3], v156 offset:4160
	s_wait_loadcnt_dscnt 0xa00
	v_mul_f64_e32 v[4:5], v[2:3], v[190:191]
	v_add_f64_e64 v[118:119], v[18:19], -v[22:23]
	s_delay_alu instid0(VALU_DEP_2) | instskip(SKIP_1) | instid1(VALU_DEP_2)
	v_fma_f64 v[24:25], v[0:1], v[188:189], -v[4:5]
	v_mul_f64_e32 v[0:1], v[0:1], v[190:191]
	v_add_f64_e64 v[120:121], v[12:13], -v[24:25]
	s_delay_alu instid0(VALU_DEP_2)
	v_fma_f64 v[26:27], v[2:3], v[188:189], v[0:1]
	ds_load_b128 v[0:3], v156 offset:1248
	s_wait_loadcnt_dscnt 0x900
	v_mul_f64_e32 v[4:5], v[2:3], v[178:179]
	v_add_f64_e64 v[116:117], v[14:15], -v[26:27]
	s_wait_loadcnt 0x0
	scratch_store_b128 off, v[7:10], off offset:412 ; 16-byte Folded Spill
	v_fma_f64 v[52:53], v[0:1], v[176:177], -v[4:5]
	v_mul_f64_e32 v[0:1], v[0:1], v[178:179]
	s_delay_alu instid0(VALU_DEP_1) | instskip(SKIP_3) | instid1(VALU_DEP_1)
	v_fma_f64 v[54:55], v[2:3], v[176:177], v[0:1]
	ds_load_b128 v[0:3], v156 offset:2288
	s_wait_dscnt 0x0
	v_mul_f64_e32 v[4:5], v[2:3], v[174:175]
	v_fma_f64 v[72:73], v[0:1], v[172:173], -v[4:5]
	v_mul_f64_e32 v[0:1], v[0:1], v[174:175]
	s_delay_alu instid0(VALU_DEP_1) | instskip(SKIP_3) | instid1(VALU_DEP_1)
	v_fma_f64 v[74:75], v[2:3], v[172:173], v[0:1]
	ds_load_b128 v[0:3], v156 offset:3328
	s_wait_dscnt 0x0
	v_mul_f64_e32 v[4:5], v[2:3], v[170:171]
	v_fma_f64 v[76:77], v[0:1], v[168:169], -v[4:5]
	v_mul_f64_e32 v[0:1], v[0:1], v[170:171]
	s_delay_alu instid0(VALU_DEP_2) | instskip(NEXT) | instid1(VALU_DEP_2)
	v_add_f64_e64 v[202:203], v[72:73], -v[76:77]
	v_fma_f64 v[78:79], v[2:3], v[168:169], v[0:1]
	ds_load_b128 v[0:3], v156 offset:4368
	s_wait_dscnt 0x0
	v_mul_f64_e32 v[4:5], v[2:3], v[166:167]
	s_delay_alu instid0(VALU_DEP_1) | instskip(SKIP_1) | instid1(VALU_DEP_2)
	v_fma_f64 v[80:81], v[0:1], v[164:165], -v[4:5]
	v_mul_f64_e32 v[0:1], v[0:1], v[166:167]
	v_add_f64_e64 v[200:201], v[52:53], -v[80:81]
	s_delay_alu instid0(VALU_DEP_2) | instskip(SKIP_3) | instid1(VALU_DEP_1)
	v_fma_f64 v[82:83], v[2:3], v[164:165], v[0:1]
	ds_load_b128 v[0:3], v156 offset:1456
	s_wait_dscnt 0x0
	v_mul_f64_e32 v[4:5], v[2:3], v[182:183]
	v_fma_f64 v[84:85], v[0:1], v[180:181], -v[4:5]
	v_mul_f64_e32 v[0:1], v[0:1], v[182:183]
	s_delay_alu instid0(VALU_DEP_1) | instskip(SKIP_3) | instid1(VALU_DEP_1)
	v_fma_f64 v[86:87], v[2:3], v[180:181], v[0:1]
	ds_load_b128 v[0:3], v156 offset:2496
	s_wait_dscnt 0x0
	v_mul_f64_e32 v[4:5], v[2:3], v[154:155]
	v_fma_f64 v[88:89], v[0:1], v[152:153], -v[4:5]
	v_mul_f64_e32 v[0:1], v[0:1], v[154:155]
	s_delay_alu instid0(VALU_DEP_1) | instskip(SKIP_3) | instid1(VALU_DEP_1)
	v_fma_f64 v[90:91], v[2:3], v[152:153], v[0:1]
	ds_load_b128 v[0:3], v156 offset:3536
	s_wait_dscnt 0x0
	v_mul_f64_e32 v[4:5], v[2:3], v[150:151]
	v_fma_f64 v[92:93], v[0:1], v[148:149], -v[4:5]
	v_mul_f64_e32 v[0:1], v[0:1], v[150:151]
	s_delay_alu instid0(VALU_DEP_2) | instskip(NEXT) | instid1(VALU_DEP_2)
	v_add_f64_e64 v[210:211], v[88:89], -v[92:93]
	v_fma_f64 v[94:95], v[2:3], v[148:149], v[0:1]
	ds_load_b128 v[0:3], v156 offset:4576
	s_wait_dscnt 0x0
	v_mul_f64_e32 v[4:5], v[2:3], v[102:103]
	s_delay_alu instid0(VALU_DEP_1) | instskip(SKIP_1) | instid1(VALU_DEP_2)
	v_fma_f64 v[96:97], v[0:1], v[100:101], -v[4:5]
	v_mul_f64_e32 v[0:1], v[0:1], v[102:103]
	v_add_f64_e64 v[208:209], v[84:85], -v[96:97]
	s_delay_alu instid0(VALU_DEP_2) | instskip(SKIP_3) | instid1(VALU_DEP_1)
	v_fma_f64 v[98:99], v[2:3], v[100:101], v[0:1]
	ds_load_b128 v[0:3], v156 offset:1664
	s_wait_dscnt 0x0
	v_mul_f64_e32 v[4:5], v[2:3], v[162:163]
	v_fma_f64 v[46:47], v[0:1], v[160:161], -v[4:5]
	v_mul_f64_e32 v[0:1], v[0:1], v[162:163]
	s_delay_alu instid0(VALU_DEP_1) | instskip(SKIP_3) | instid1(VALU_DEP_1)
	v_fma_f64 v[44:45], v[2:3], v[160:161], v[0:1]
	ds_load_b128 v[0:3], v156 offset:2704
	s_wait_dscnt 0x0
	v_mul_f64_e32 v[4:5], v[2:3], v[9:10]
	v_fma_f64 v[104:105], v[0:1], v[7:8], -v[4:5]
	v_mul_f64_e32 v[0:1], v[0:1], v[9:10]
	s_delay_alu instid0(VALU_DEP_1)
	v_fma_f64 v[106:107], v[2:3], v[7:8], v[0:1]
	global_load_b128 v[7:10], v6, s[0:1] offset:864
	ds_load_b128 v[0:3], v156 offset:3744
	s_wait_loadcnt_dscnt 0x0
	v_mul_f64_e32 v[4:5], v[2:3], v[9:10]
	scratch_store_b128 off, v[7:10], off offset:360 ; 16-byte Folded Spill
	v_fma_f64 v[108:109], v[0:1], v[7:8], -v[4:5]
	v_mul_f64_e32 v[0:1], v[0:1], v[9:10]
	s_delay_alu instid0(VALU_DEP_2) | instskip(NEXT) | instid1(VALU_DEP_2)
	v_add_f64_e64 v[216:217], v[104:105], -v[108:109]
	v_fma_f64 v[110:111], v[2:3], v[7:8], v[0:1]
	global_load_b128 v[6:9], v6, s[0:1] offset:880
	ds_load_b128 v[0:3], v156 offset:4784
	s_wait_loadcnt_dscnt 0x0
	v_mul_f64_e32 v[4:5], v[2:3], v[8:9]
	scratch_store_b128 off, v[6:9], off offset:344 ; 16-byte Folded Spill
	v_fma_f64 v[112:113], v[0:1], v[6:7], -v[4:5]
	v_mul_f64_e32 v[0:1], v[0:1], v[8:9]
	s_delay_alu instid0(VALU_DEP_1)
	v_fma_f64 v[114:115], v[2:3], v[6:7], v[0:1]
	v_lshlrev_b32_e32 v6, 6, v48
	ds_load_b128 v[0:3], v156 offset:1872
	global_load_b128 v[7:10], v6, s[0:1] offset:832
	s_wait_loadcnt_dscnt 0x0
	v_mul_f64_e32 v[4:5], v[2:3], v[9:10]
	scratch_store_b128 off, v[7:10], off offset:312 ; 16-byte Folded Spill
	v_fma_f64 v[30:31], v[0:1], v[7:8], -v[4:5]
	v_mul_f64_e32 v[0:1], v[0:1], v[9:10]
	s_delay_alu instid0(VALU_DEP_1)
	v_fma_f64 v[28:29], v[2:3], v[7:8], v[0:1]
	global_load_b128 v[7:10], v6, s[0:1] offset:848
	ds_load_b128 v[0:3], v156 offset:2912
	s_wait_loadcnt_dscnt 0x0
	v_mul_f64_e32 v[4:5], v[2:3], v[9:10]
	scratch_store_b128 off, v[7:10], off offset:296 ; 16-byte Folded Spill
	v_fma_f64 v[32:33], v[0:1], v[7:8], -v[4:5]
	v_mul_f64_e32 v[0:1], v[0:1], v[9:10]
	s_delay_alu instid0(VALU_DEP_1)
	v_fma_f64 v[34:35], v[2:3], v[7:8], v[0:1]
	global_load_b128 v[7:10], v6, s[0:1] offset:864
	ds_load_b128 v[0:3], v156 offset:3952
	;; [unrolled: 9-line block ×3, first 2 shown]
	s_add_nc_u64 s[0:1], s[12:13], 0x1450
	s_wait_loadcnt_dscnt 0x0
	v_mul_f64_e32 v[4:5], v[2:3], v[8:9]
	scratch_store_b128 off, v[6:9], off offset:280 ; 16-byte Folded Spill
	v_fma_f64 v[40:41], v[0:1], v[6:7], -v[4:5]
	v_mul_f64_e32 v[0:1], v[0:1], v[8:9]
	ds_load_b128 v[8:11], v156
	v_fma_f64 v[42:43], v[2:3], v[6:7], v[0:1]
	v_add_f64_e64 v[0:1], v[12:13], -v[16:17]
	v_add_f64_e64 v[2:3], v[24:25], -v[20:21]
	s_delay_alu instid0(VALU_DEP_1) | instskip(SKIP_2) | instid1(VALU_DEP_1)
	v_add_f64_e32 v[4:5], v[0:1], v[2:3]
	v_add_f64_e64 v[0:1], v[14:15], -v[18:19]
	v_add_f64_e64 v[2:3], v[26:27], -v[22:23]
	v_add_f64_e32 v[6:7], v[0:1], v[2:3]
	v_add_f64_e32 v[0:1], v[16:17], v[20:21]
	s_wait_dscnt 0x0
	s_delay_alu instid0(VALU_DEP_1) | instskip(SKIP_1) | instid1(VALU_DEP_1)
	v_fma_f64 v[48:49], v[0:1], -0.5, v[8:9]
	v_add_f64_e32 v[0:1], v[18:19], v[22:23]
	v_fma_f64 v[50:51], v[0:1], -0.5, v[10:11]
	s_delay_alu instid0(VALU_DEP_3) | instskip(SKIP_1) | instid1(VALU_DEP_3)
	v_fma_f64 v[0:1], v[116:117], s[2:3], v[48:49]
	v_fma_f64 v[48:49], v[116:117], s[8:9], v[48:49]
	;; [unrolled: 1-line block ×4, first 2 shown]
	s_delay_alu instid0(VALU_DEP_4) | instskip(NEXT) | instid1(VALU_DEP_4)
	v_fma_f64 v[0:1], v[118:119], s[14:15], v[0:1]
	v_fma_f64 v[48:49], v[118:119], s[16:17], v[48:49]
	s_delay_alu instid0(VALU_DEP_4) | instskip(NEXT) | instid1(VALU_DEP_4)
	v_fma_f64 v[2:3], v[122:123], s[16:17], v[2:3]
	v_fma_f64 v[50:51], v[122:123], s[14:15], v[50:51]
	s_delay_alu instid0(VALU_DEP_4) | instskip(NEXT) | instid1(VALU_DEP_4)
	v_fma_f64 v[0:1], v[4:5], s[18:19], v[0:1]
	v_fma_f64 v[4:5], v[4:5], s[18:19], v[48:49]
	v_add_f64_e32 v[48:49], v[12:13], v[24:25]
	v_fma_f64 v[2:3], v[6:7], s[18:19], v[2:3]
	v_fma_f64 v[6:7], v[6:7], s[18:19], v[50:51]
	v_add_f64_e32 v[50:51], v[14:15], v[26:27]
	s_delay_alu instid0(VALU_DEP_4) | instskip(SKIP_2) | instid1(VALU_DEP_4)
	v_fma_f64 v[48:49], v[48:49], -0.5, v[8:9]
	v_add_f64_e32 v[8:9], v[8:9], v[12:13]
	v_add_f64_e64 v[12:13], v[16:17], -v[12:13]
	v_fma_f64 v[50:51], v[50:51], -0.5, v[10:11]
	v_add_f64_e32 v[10:11], v[10:11], v[14:15]
	v_add_f64_e64 v[14:15], v[18:19], -v[14:15]
	v_add_f64_e32 v[8:9], v[8:9], v[16:17]
	v_add_f64_e64 v[16:17], v[20:21], -v[24:25]
	s_delay_alu instid0(VALU_DEP_4) | instskip(SKIP_1) | instid1(VALU_DEP_4)
	v_add_f64_e32 v[10:11], v[10:11], v[18:19]
	v_add_f64_e64 v[18:19], v[22:23], -v[26:27]
	v_add_f64_e32 v[8:9], v[8:9], v[20:21]
	v_fma_f64 v[20:21], v[118:119], s[8:9], v[48:49]
	v_add_f64_e32 v[16:17], v[12:13], v[16:17]
	v_add_f64_e32 v[10:11], v[10:11], v[22:23]
	v_fma_f64 v[22:23], v[118:119], s[2:3], v[48:49]
	v_add_f64_e32 v[8:9], v[8:9], v[24:25]
	v_fma_f64 v[24:25], v[122:123], s[2:3], v[50:51]
	;; [unrolled: 2-line block ×4, first 2 shown]
	v_fma_f64 v[20:21], v[116:117], s[16:17], v[22:23]
	v_fma_f64 v[14:15], v[120:121], s[16:17], v[24:25]
	ds_load_b128 v[48:51], v156 offset:208
	v_fma_f64 v[12:13], v[16:17], s[18:19], v[12:13]
	v_add_f64_e64 v[122:123], v[74:75], -v[78:79]
	v_fma_f64 v[22:23], v[120:121], s[14:15], v[26:27]
	v_fma_f64 v[16:17], v[16:17], s[18:19], v[20:21]
	;; [unrolled: 1-line block ×3, first 2 shown]
	v_add_f64_e64 v[20:21], v[52:53], -v[72:73]
	v_add_f64_e64 v[120:121], v[54:55], -v[82:83]
	v_fma_f64 v[18:19], v[18:19], s[18:19], v[22:23]
	v_add_f64_e64 v[22:23], v[80:81], -v[76:77]
	s_delay_alu instid0(VALU_DEP_1) | instskip(SKIP_2) | instid1(VALU_DEP_1)
	v_add_f64_e32 v[24:25], v[20:21], v[22:23]
	v_add_f64_e64 v[20:21], v[54:55], -v[74:75]
	v_add_f64_e64 v[22:23], v[82:83], -v[78:79]
	v_add_f64_e32 v[26:27], v[20:21], v[22:23]
	v_add_f64_e32 v[20:21], v[72:73], v[76:77]
	s_wait_dscnt 0x0
	s_delay_alu instid0(VALU_DEP_1) | instskip(SKIP_1) | instid1(VALU_DEP_1)
	v_fma_f64 v[116:117], v[20:21], -0.5, v[48:49]
	v_add_f64_e32 v[20:21], v[74:75], v[78:79]
	v_fma_f64 v[118:119], v[20:21], -0.5, v[50:51]
	s_delay_alu instid0(VALU_DEP_3) | instskip(SKIP_1) | instid1(VALU_DEP_3)
	v_fma_f64 v[20:21], v[120:121], s[2:3], v[116:117]
	v_fma_f64 v[116:117], v[120:121], s[8:9], v[116:117]
	;; [unrolled: 1-line block ×4, first 2 shown]
	s_delay_alu instid0(VALU_DEP_4) | instskip(NEXT) | instid1(VALU_DEP_4)
	v_fma_f64 v[20:21], v[122:123], s[14:15], v[20:21]
	v_fma_f64 v[116:117], v[122:123], s[16:17], v[116:117]
	s_delay_alu instid0(VALU_DEP_4) | instskip(NEXT) | instid1(VALU_DEP_4)
	v_fma_f64 v[22:23], v[202:203], s[16:17], v[22:23]
	v_fma_f64 v[118:119], v[202:203], s[14:15], v[118:119]
	;; [unrolled: 3-line block ×3, first 2 shown]
	v_add_f64_e32 v[116:117], v[52:53], v[80:81]
	v_fma_f64 v[22:23], v[26:27], s[18:19], v[22:23]
	v_fma_f64 v[26:27], v[26:27], s[18:19], v[118:119]
	v_add_f64_e32 v[118:119], v[54:55], v[82:83]
	s_delay_alu instid0(VALU_DEP_4) | instskip(SKIP_2) | instid1(VALU_DEP_4)
	v_fma_f64 v[116:117], v[116:117], -0.5, v[48:49]
	v_add_f64_e32 v[48:49], v[48:49], v[52:53]
	v_add_f64_e64 v[52:53], v[72:73], -v[52:53]
	v_fma_f64 v[118:119], v[118:119], -0.5, v[50:51]
	v_add_f64_e32 v[50:51], v[50:51], v[54:55]
	v_add_f64_e64 v[54:55], v[74:75], -v[54:55]
	v_add_f64_e32 v[48:49], v[48:49], v[72:73]
	v_add_f64_e64 v[72:73], v[76:77], -v[80:81]
	s_delay_alu instid0(VALU_DEP_4) | instskip(SKIP_1) | instid1(VALU_DEP_4)
	v_add_f64_e32 v[50:51], v[50:51], v[74:75]
	v_add_f64_e64 v[74:75], v[78:79], -v[82:83]
	v_add_f64_e32 v[48:49], v[48:49], v[76:77]
	v_fma_f64 v[76:77], v[122:123], s[8:9], v[116:117]
	v_add_f64_e32 v[72:73], v[52:53], v[72:73]
	v_add_f64_e32 v[50:51], v[50:51], v[78:79]
	v_fma_f64 v[78:79], v[122:123], s[2:3], v[116:117]
	v_add_f64_e32 v[48:49], v[48:49], v[80:81]
	v_fma_f64 v[80:81], v[202:203], s[2:3], v[118:119]
	;; [unrolled: 2-line block ×4, first 2 shown]
	v_fma_f64 v[76:77], v[120:121], s[16:17], v[78:79]
	v_fma_f64 v[54:55], v[200:201], s[16:17], v[80:81]
	v_add_f64_e32 v[80:81], v[88:89], v[92:93]
	v_fma_f64 v[52:53], v[72:73], s[18:19], v[52:53]
	v_add_f64_e64 v[202:203], v[90:91], -v[94:95]
	v_fma_f64 v[78:79], v[200:201], s[14:15], v[82:83]
	v_fma_f64 v[72:73], v[72:73], s[18:19], v[76:77]
	;; [unrolled: 1-line block ×3, first 2 shown]
	v_add_f64_e64 v[76:77], v[84:85], -v[88:89]
	v_add_f64_e64 v[200:201], v[86:87], -v[98:99]
	v_fma_f64 v[74:75], v[74:75], s[18:19], v[78:79]
	v_add_f64_e64 v[78:79], v[96:97], -v[92:93]
	s_delay_alu instid0(VALU_DEP_1) | instskip(SKIP_2) | instid1(VALU_DEP_1)
	v_add_f64_e32 v[116:117], v[76:77], v[78:79]
	v_add_f64_e64 v[76:77], v[86:87], -v[90:91]
	v_add_f64_e64 v[78:79], v[98:99], -v[94:95]
	v_add_f64_e32 v[118:119], v[76:77], v[78:79]
	ds_load_b128 v[76:79], v156 offset:416
	s_wait_dscnt 0x0
	v_fma_f64 v[120:121], v[80:81], -0.5, v[76:77]
	v_add_f64_e32 v[80:81], v[90:91], v[94:95]
	s_delay_alu instid0(VALU_DEP_1) | instskip(NEXT) | instid1(VALU_DEP_3)
	v_fma_f64 v[122:123], v[80:81], -0.5, v[78:79]
	v_fma_f64 v[80:81], v[200:201], s[2:3], v[120:121]
	v_fma_f64 v[120:121], v[200:201], s[8:9], v[120:121]
	s_delay_alu instid0(VALU_DEP_3) | instskip(SKIP_1) | instid1(VALU_DEP_4)
	v_fma_f64 v[82:83], v[208:209], s[8:9], v[122:123]
	v_fma_f64 v[122:123], v[208:209], s[2:3], v[122:123]
	;; [unrolled: 1-line block ×3, first 2 shown]
	s_delay_alu instid0(VALU_DEP_4) | instskip(NEXT) | instid1(VALU_DEP_4)
	v_fma_f64 v[120:121], v[202:203], s[16:17], v[120:121]
	v_fma_f64 v[82:83], v[210:211], s[16:17], v[82:83]
	s_delay_alu instid0(VALU_DEP_4) | instskip(NEXT) | instid1(VALU_DEP_4)
	v_fma_f64 v[122:123], v[210:211], s[14:15], v[122:123]
	v_fma_f64 v[80:81], v[116:117], s[18:19], v[80:81]
	s_delay_alu instid0(VALU_DEP_4)
	v_fma_f64 v[204:205], v[116:117], s[18:19], v[120:121]
	v_add_f64_e32 v[116:117], v[84:85], v[96:97]
	v_fma_f64 v[82:83], v[118:119], s[18:19], v[82:83]
	v_fma_f64 v[206:207], v[118:119], s[18:19], v[122:123]
	v_add_f64_e32 v[118:119], v[86:87], v[98:99]
	v_add_f64_e64 v[122:123], v[46:47], -v[112:113]
	v_fma_f64 v[116:117], v[116:117], -0.5, v[76:77]
	v_add_f64_e32 v[76:77], v[76:77], v[84:85]
	v_add_f64_e64 v[84:85], v[88:89], -v[84:85]
	v_fma_f64 v[118:119], v[118:119], -0.5, v[78:79]
	v_add_f64_e32 v[78:79], v[78:79], v[86:87]
	v_add_f64_e64 v[86:87], v[90:91], -v[86:87]
	v_add_f64_e32 v[76:77], v[76:77], v[88:89]
	v_add_f64_e64 v[88:89], v[92:93], -v[96:97]
	s_delay_alu instid0(VALU_DEP_4) | instskip(SKIP_1) | instid1(VALU_DEP_4)
	v_add_f64_e32 v[78:79], v[78:79], v[90:91]
	v_add_f64_e64 v[90:91], v[94:95], -v[98:99]
	v_add_f64_e32 v[76:77], v[76:77], v[92:93]
	v_fma_f64 v[92:93], v[202:203], s[8:9], v[116:117]
	v_add_f64_e32 v[88:89], v[84:85], v[88:89]
	v_add_f64_e32 v[78:79], v[78:79], v[94:95]
	v_fma_f64 v[94:95], v[202:203], s[2:3], v[116:117]
	v_add_f64_e32 v[76:77], v[76:77], v[96:97]
	v_fma_f64 v[96:97], v[210:211], s[2:3], v[118:119]
	;; [unrolled: 2-line block ×3, first 2 shown]
	v_add_f64_e64 v[116:117], v[44:45], -v[114:115]
	v_add_f64_e32 v[78:79], v[78:79], v[98:99]
	v_fma_f64 v[98:99], v[210:211], s[8:9], v[118:119]
	v_fma_f64 v[92:93], v[200:201], s[16:17], v[94:95]
	;; [unrolled: 1-line block ×3, first 2 shown]
	v_add_f64_e32 v[96:97], v[104:105], v[108:109]
	v_fma_f64 v[84:85], v[88:89], s[18:19], v[84:85]
	v_add_f64_e64 v[118:119], v[106:107], -v[110:111]
	v_fma_f64 v[94:95], v[208:209], s[14:15], v[98:99]
	v_fma_f64 v[200:201], v[88:89], s[18:19], v[92:93]
	;; [unrolled: 1-line block ×3, first 2 shown]
	v_add_f64_e64 v[88:89], v[46:47], -v[104:105]
	v_add_f64_e32 v[98:99], v[106:107], v[110:111]
	v_fma_f64 v[202:203], v[90:91], s[18:19], v[94:95]
	v_add_f64_e64 v[90:91], v[112:113], -v[108:109]
	s_delay_alu instid0(VALU_DEP_1) | instskip(SKIP_2) | instid1(VALU_DEP_1)
	v_add_f64_e32 v[92:93], v[88:89], v[90:91]
	v_add_f64_e64 v[88:89], v[44:45], -v[106:107]
	v_add_f64_e64 v[90:91], v[114:115], -v[110:111]
	v_add_f64_e32 v[94:95], v[88:89], v[90:91]
	ds_load_b128 v[88:91], v156 offset:624
	s_wait_dscnt 0x0
	v_fma_f64 v[96:97], v[96:97], -0.5, v[88:89]
	v_fma_f64 v[98:99], v[98:99], -0.5, v[90:91]
	s_delay_alu instid0(VALU_DEP_2) | instskip(NEXT) | instid1(VALU_DEP_2)
	v_fma_f64 v[120:121], v[116:117], s[2:3], v[96:97]
	v_fma_f64 v[208:209], v[122:123], s[8:9], v[98:99]
	;; [unrolled: 1-line block ×4, first 2 shown]
	s_delay_alu instid0(VALU_DEP_4) | instskip(NEXT) | instid1(VALU_DEP_4)
	v_fma_f64 v[120:121], v[118:119], s[14:15], v[120:121]
	v_fma_f64 v[208:209], v[216:217], s[16:17], v[208:209]
	s_delay_alu instid0(VALU_DEP_4) | instskip(NEXT) | instid1(VALU_DEP_4)
	v_fma_f64 v[96:97], v[118:119], s[16:17], v[96:97]
	v_fma_f64 v[98:99], v[216:217], s[14:15], v[98:99]
	;; [unrolled: 3-line block ×4, first 2 shown]
	v_add_f64_e32 v[92:93], v[46:47], v[112:113]
	v_add_f64_e32 v[94:95], v[44:45], v[114:115]
	v_add_f64_e64 v[96:97], v[108:109], -v[112:113]
	s_delay_alu instid0(VALU_DEP_3) | instskip(NEXT) | instid1(VALU_DEP_3)
	v_fma_f64 v[92:93], v[92:93], -0.5, v[88:89]
	v_fma_f64 v[94:95], v[94:95], -0.5, v[90:91]
	v_add_f64_e32 v[88:89], v[88:89], v[46:47]
	v_add_f64_e32 v[90:91], v[90:91], v[44:45]
	v_add_f64_e64 v[46:47], v[104:105], -v[46:47]
	v_add_f64_e64 v[44:45], v[106:107], -v[44:45]
	v_fma_f64 v[98:99], v[216:217], s[2:3], v[94:95]
	v_add_f64_e32 v[88:89], v[88:89], v[104:105]
	v_add_f64_e32 v[90:91], v[90:91], v[106:107]
	v_fma_f64 v[94:95], v[216:217], s[8:9], v[94:95]
	v_add_f64_e32 v[46:47], v[46:47], v[96:97]
	v_add_f64_e64 v[96:97], v[34:35], -v[36:37]
	v_add_f64_e64 v[106:107], v[32:33], -v[38:39]
	v_add_f64_e32 v[88:89], v[88:89], v[108:109]
	v_add_f64_e32 v[90:91], v[90:91], v[110:111]
	v_fma_f64 v[94:95], v[122:123], s[14:15], v[94:95]
	v_add_f64_e64 v[108:109], v[30:31], -v[40:41]
	s_delay_alu instid0(VALU_DEP_4) | instskip(NEXT) | instid1(VALU_DEP_4)
	v_add_f64_e32 v[208:209], v[88:89], v[112:113]
	v_add_f64_e32 v[210:211], v[90:91], v[114:115]
	v_add_f64_e64 v[88:89], v[110:111], -v[114:115]
	v_fma_f64 v[90:91], v[118:119], s[8:9], v[92:93]
	v_fma_f64 v[92:93], v[118:119], s[2:3], v[92:93]
	v_mov_b32_e32 v112, v230
	s_delay_alu instid0(VALU_DEP_1)
	v_lshl_add_u32 v157, v124, 4, v112
	scratch_store_b32 off, v112, off offset:560 ; 4-byte Folded Spill
	v_add_f64_e32 v[44:45], v[44:45], v[88:89]
	v_fma_f64 v[88:89], v[116:117], s[14:15], v[90:91]
	v_fma_f64 v[90:91], v[116:117], s[16:17], v[92:93]
	;; [unrolled: 1-line block ×3, first 2 shown]
	v_add_f64_e64 v[98:99], v[28:29], -v[42:43]
	v_fma_f64 v[230:231], v[44:45], s[18:19], v[94:95]
	v_fma_f64 v[216:217], v[46:47], s[18:19], v[88:89]
	;; [unrolled: 1-line block ×4, first 2 shown]
	v_add_f64_e64 v[44:45], v[32:33], -v[30:31]
	v_add_f64_e64 v[46:47], v[38:39], -v[40:41]
	v_add_f64_e32 v[92:93], v[30:31], v[40:41]
	v_add_f64_e32 v[94:95], v[28:29], v[42:43]
	s_delay_alu instid0(VALU_DEP_3) | instskip(SKIP_2) | instid1(VALU_DEP_1)
	v_add_f64_e32 v[88:89], v[44:45], v[46:47]
	v_add_f64_e64 v[44:45], v[34:35], -v[28:29]
	v_add_f64_e64 v[46:47], v[36:37], -v[42:43]
	v_add_f64_e32 v[90:91], v[44:45], v[46:47]
	ds_load_b128 v[44:47], v156 offset:832
	s_wait_dscnt 0x0
	v_fma_f64 v[92:93], v[92:93], -0.5, v[44:45]
	v_fma_f64 v[94:95], v[94:95], -0.5, v[46:47]
	s_delay_alu instid0(VALU_DEP_2) | instskip(NEXT) | instid1(VALU_DEP_2)
	v_fma_f64 v[104:105], v[96:97], s[8:9], v[92:93]
	v_fma_f64 v[110:111], v[106:107], s[2:3], v[94:95]
	;; [unrolled: 1-line block ×4, first 2 shown]
	s_delay_alu instid0(VALU_DEP_4) | instskip(NEXT) | instid1(VALU_DEP_4)
	v_fma_f64 v[104:105], v[98:99], s[14:15], v[104:105]
	v_fma_f64 v[110:111], v[108:109], s[16:17], v[110:111]
	s_delay_alu instid0(VALU_DEP_4) | instskip(NEXT) | instid1(VALU_DEP_4)
	v_fma_f64 v[92:93], v[98:99], s[16:17], v[92:93]
	v_fma_f64 v[94:95], v[108:109], s[14:15], v[94:95]
	;; [unrolled: 3-line block ×4, first 2 shown]
	v_add_f64_e32 v[88:89], v[32:33], v[38:39]
	v_add_f64_e32 v[90:91], v[34:35], v[36:37]
	s_delay_alu instid0(VALU_DEP_2) | instskip(NEXT) | instid1(VALU_DEP_2)
	v_fma_f64 v[88:89], v[88:89], -0.5, v[44:45]
	v_fma_f64 v[90:91], v[90:91], -0.5, v[46:47]
	v_add_f64_e32 v[44:45], v[44:45], v[30:31]
	v_add_f64_e32 v[46:47], v[46:47], v[28:29]
	v_add_f64_e64 v[30:31], v[30:31], -v[32:33]
	v_add_f64_e64 v[28:29], v[28:29], -v[34:35]
	s_delay_alu instid0(VALU_DEP_4) | instskip(NEXT) | instid1(VALU_DEP_4)
	v_add_f64_e32 v[32:33], v[44:45], v[32:33]
	v_add_f64_e32 v[44:45], v[46:47], v[34:35]
	s_delay_alu instid0(VALU_DEP_2) | instskip(NEXT) | instid1(VALU_DEP_2)
	v_add_f64_e32 v[32:33], v[32:33], v[38:39]
	v_add_f64_e32 v[34:35], v[44:45], v[36:37]
	v_add_f64_e64 v[38:39], v[40:41], -v[38:39]
	s_delay_alu instid0(VALU_DEP_3) | instskip(NEXT) | instid1(VALU_DEP_3)
	v_add_f64_e32 v[244:245], v[32:33], v[40:41]
	v_add_f64_e32 v[246:247], v[34:35], v[42:43]
	v_add_f64_e64 v[32:33], v[42:43], -v[36:37]
	v_fma_f64 v[34:35], v[98:99], s[2:3], v[88:89]
	v_fma_f64 v[36:37], v[98:99], s[8:9], v[88:89]
	;; [unrolled: 1-line block ×4, first 2 shown]
	v_add_f64_e32 v[30:31], v[30:31], v[38:39]
	v_add_f64_e32 v[28:29], v[28:29], v[32:33]
	v_fma_f64 v[32:33], v[96:97], s[14:15], v[34:35]
	v_fma_f64 v[34:35], v[96:97], s[16:17], v[36:37]
	;; [unrolled: 1-line block ×4, first 2 shown]
	s_delay_alu instid0(VALU_DEP_4) | instskip(NEXT) | instid1(VALU_DEP_4)
	v_fma_f64 v[240:241], v[30:31], s[18:19], v[32:33]
	v_fma_f64 v[220:221], v[30:31], s[18:19], v[34:35]
	s_delay_alu instid0(VALU_DEP_4) | instskip(NEXT) | instid1(VALU_DEP_4)
	v_fma_f64 v[242:243], v[28:29], s[18:19], v[36:37]
	v_fma_f64 v[222:223], v[28:29], s[18:19], v[38:39]
	ds_store_b128 v157, v[48:51] offset:208
	ds_store_b128 v157, v[76:79] offset:416
	ds_store_b128 v156, v[8:11]
	ds_store_b128 v157, v[0:3] offset:1040
	ds_store_b128 v157, v[20:23] offset:1248
	;; [unrolled: 1-line block ×22, first 2 shown]
	global_wb scope:SCOPE_SE
	s_wait_storecnt_dscnt 0x0
	s_barrier_signal -1
	s_barrier_wait -1
	global_inv scope:SCOPE_SE
	scratch_load_b64 v[0:1], off, off offset:4 ; 8-byte Folded Reload
	ds_load_b128 v[4:7], v156
	ds_load_b128 v[16:19], v156 offset:800
	ds_load_b128 v[28:31], v156 offset:1600
	;; [unrolled: 1-line block ×11, first 2 shown]
	global_load_b128 v[72:75], v248, s[0:1] offset:3600
	s_wait_loadcnt 0x1
	global_load_b128 v[0:3], v[0:1], off offset:5200
	s_wait_loadcnt_dscnt 0xb
	v_mul_f64_e32 v[8:9], v[6:7], v[2:3]
	v_mul_f64_e32 v[10:11], v[4:5], v[2:3]
	s_delay_alu instid0(VALU_DEP_2) | instskip(NEXT) | instid1(VALU_DEP_2)
	v_fma_f64 v[2:3], v[4:5], v[0:1], -v[8:9]
	v_fma_f64 v[4:5], v[6:7], v[0:1], v[10:11]
	global_load_b128 v[6:9], v248, s[0:1] offset:400
	ds_load_b128 v[10:13], v156 offset:400
	s_wait_loadcnt_dscnt 0x0
	v_mul_f64_e32 v[0:1], v[12:13], v[8:9]
	v_mul_f64_e32 v[14:15], v[10:11], v[8:9]
	s_delay_alu instid0(VALU_DEP_2) | instskip(NEXT) | instid1(VALU_DEP_2)
	v_fma_f64 v[8:9], v[10:11], v[6:7], -v[0:1]
	v_fma_f64 v[10:11], v[12:13], v[6:7], v[14:15]
	global_load_b128 v[12:15], v248, s[0:1] offset:800
	s_wait_loadcnt 0x0
	v_mul_f64_e32 v[0:1], v[18:19], v[14:15]
	v_mul_f64_e32 v[6:7], v[16:17], v[14:15]
	s_delay_alu instid0(VALU_DEP_2) | instskip(NEXT) | instid1(VALU_DEP_2)
	v_fma_f64 v[14:15], v[16:17], v[12:13], -v[0:1]
	v_fma_f64 v[16:17], v[18:19], v[12:13], v[6:7]
	global_load_b128 v[18:21], v248, s[0:1] offset:1200
	s_wait_loadcnt 0x0
	;; [unrolled: 7-line block ×7, first 2 shown]
	v_mul_f64_e32 v[0:1], v[54:55], v[50:51]
	v_mul_f64_e32 v[6:7], v[52:53], v[50:51]
	s_delay_alu instid0(VALU_DEP_2) | instskip(NEXT) | instid1(VALU_DEP_2)
	v_fma_f64 v[50:51], v[52:53], v[48:49], -v[0:1]
	v_fma_f64 v[52:53], v[54:55], v[48:49], v[6:7]
	v_mul_f64_e32 v[0:1], v[78:79], v[74:75]
	v_mul_f64_e32 v[6:7], v[76:77], v[74:75]
	s_delay_alu instid0(VALU_DEP_2) | instskip(NEXT) | instid1(VALU_DEP_2)
	v_fma_f64 v[74:75], v[76:77], v[72:73], -v[0:1]
	v_fma_f64 v[76:77], v[78:79], v[72:73], v[6:7]
	global_load_b128 v[78:81], v248, s[0:1] offset:4000
	s_wait_loadcnt 0x0
	v_mul_f64_e32 v[0:1], v[84:85], v[80:81]
	v_mul_f64_e32 v[6:7], v[82:83], v[80:81]
	s_delay_alu instid0(VALU_DEP_2) | instskip(NEXT) | instid1(VALU_DEP_2)
	v_fma_f64 v[80:81], v[82:83], v[78:79], -v[0:1]
	v_fma_f64 v[82:83], v[84:85], v[78:79], v[6:7]
	global_load_b128 v[84:87], v248, s[0:1] offset:4400
	s_wait_loadcnt 0x0
	;; [unrolled: 7-line block ×3, first 2 shown]
	v_mul_f64_e32 v[0:1], v[96:97], v[92:93]
	v_mul_f64_e32 v[6:7], v[94:95], v[92:93]
	s_delay_alu instid0(VALU_DEP_2) | instskip(NEXT) | instid1(VALU_DEP_2)
	v_fma_f64 v[92:93], v[94:95], v[90:91], -v[0:1]
	v_fma_f64 v[94:95], v[96:97], v[90:91], v[6:7]
	ds_store_b128 v156, v[2:5]
	ds_store_b128 v156, v[8:11] offset:400
	ds_store_b128 v156, v[14:17] offset:800
	;; [unrolled: 1-line block ×12, first 2 shown]
	s_and_saveexec_b32 s2, vcc_lo
	s_cbranch_execz .LBB0_9
; %bb.8:
	s_wait_alu 0xfffe
	v_add_co_u32 v48, s0, s0, v248
	s_wait_alu 0xf1ff
	v_add_co_ci_u32_e64 v49, null, s1, 0, s0
	s_clause 0x6
	global_load_b128 v[0:3], v[48:49], off offset:208
	global_load_b128 v[4:7], v[48:49], off offset:608
	;; [unrolled: 1-line block ×7, first 2 shown]
	ds_load_b128 v[28:31], v157 offset:208
	global_load_b128 v[32:35], v[48:49], off offset:3008
	s_wait_loadcnt_dscnt 0x700
	v_mul_f64_e32 v[36:37], v[30:31], v[2:3]
	v_mul_f64_e32 v[2:3], v[28:29], v[2:3]
	s_delay_alu instid0(VALU_DEP_2) | instskip(NEXT) | instid1(VALU_DEP_2)
	v_fma_f64 v[28:29], v[28:29], v[0:1], -v[36:37]
	v_fma_f64 v[30:31], v[30:31], v[0:1], v[2:3]
	global_load_b128 v[0:3], v[48:49], off offset:3408
	ds_store_b128 v157, v[28:31] offset:208
	ds_load_b128 v[28:31], v156 offset:608
	ds_load_b128 v[36:39], v156 offset:1008
	;; [unrolled: 1-line block ×3, first 2 shown]
	s_wait_loadcnt_dscnt 0x702
	v_mul_f64_e32 v[44:45], v[30:31], v[6:7]
	v_mul_f64_e32 v[6:7], v[28:29], v[6:7]
	s_wait_loadcnt_dscnt 0x601
	v_mul_f64_e32 v[46:47], v[38:39], v[10:11]
	v_mul_f64_e32 v[10:11], v[36:37], v[10:11]
	s_delay_alu instid0(VALU_DEP_4) | instskip(NEXT) | instid1(VALU_DEP_4)
	v_fma_f64 v[28:29], v[28:29], v[4:5], -v[44:45]
	v_fma_f64 v[30:31], v[30:31], v[4:5], v[6:7]
	global_load_b128 v[4:7], v[48:49], off offset:3808
	v_fma_f64 v[36:37], v[36:37], v[8:9], -v[46:47]
	v_fma_f64 v[38:39], v[38:39], v[8:9], v[10:11]
	ds_load_b128 v[8:11], v156 offset:1808
	s_wait_loadcnt_dscnt 0x601
	v_mul_f64_e32 v[44:45], v[42:43], v[14:15]
	v_mul_f64_e32 v[14:15], v[40:41], v[14:15]
	s_wait_loadcnt_dscnt 0x500
	v_mul_f64_e32 v[50:51], v[10:11], v[18:19]
	v_mul_f64_e32 v[18:19], v[8:9], v[18:19]
	s_delay_alu instid0(VALU_DEP_4)
	v_fma_f64 v[40:41], v[40:41], v[12:13], -v[44:45]
	global_load_b128 v[44:47], v[48:49], off offset:4208
	v_fma_f64 v[42:43], v[42:43], v[12:13], v[14:15]
	ds_load_b128 v[12:15], v156 offset:2208
	v_fma_f64 v[8:9], v[8:9], v[16:17], -v[50:51]
	v_fma_f64 v[10:11], v[10:11], v[16:17], v[18:19]
	s_clause 0x1
	global_load_b128 v[16:19], v[48:49], off offset:4608
	global_load_b128 v[48:51], v[48:49], off offset:5008
	s_wait_loadcnt_dscnt 0x700
	v_mul_f64_e32 v[52:53], v[14:15], v[22:23]
	v_mul_f64_e32 v[22:23], v[12:13], v[22:23]
	s_delay_alu instid0(VALU_DEP_2) | instskip(NEXT) | instid1(VALU_DEP_2)
	v_fma_f64 v[12:13], v[12:13], v[20:21], -v[52:53]
	v_fma_f64 v[14:15], v[14:15], v[20:21], v[22:23]
	ds_load_b128 v[20:23], v156 offset:2608
	s_wait_loadcnt_dscnt 0x600
	v_mul_f64_e32 v[52:53], v[22:23], v[26:27]
	v_mul_f64_e32 v[26:27], v[20:21], v[26:27]
	s_delay_alu instid0(VALU_DEP_2) | instskip(NEXT) | instid1(VALU_DEP_2)
	v_fma_f64 v[20:21], v[20:21], v[24:25], -v[52:53]
	v_fma_f64 v[22:23], v[22:23], v[24:25], v[26:27]
	ds_load_b128 v[24:27], v156 offset:3008
	;; [unrolled: 7-line block ×7, first 2 shown]
	s_wait_loadcnt_dscnt 0x0
	v_mul_f64_e32 v[52:53], v[18:19], v[50:51]
	v_mul_f64_e32 v[50:51], v[16:17], v[50:51]
	s_delay_alu instid0(VALU_DEP_2) | instskip(NEXT) | instid1(VALU_DEP_2)
	v_fma_f64 v[16:17], v[16:17], v[48:49], -v[52:53]
	v_fma_f64 v[18:19], v[18:19], v[48:49], v[50:51]
	ds_store_b128 v156, v[28:31] offset:608
	ds_store_b128 v156, v[36:39] offset:1008
	;; [unrolled: 1-line block ×12, first 2 shown]
.LBB0_9:
	s_wait_alu 0xfffe
	s_or_b32 exec_lo, exec_lo, s2
	global_wb scope:SCOPE_SE
	s_wait_dscnt 0x0
	s_barrier_signal -1
	s_barrier_wait -1
	global_inv scope:SCOPE_SE
	ds_load_b128 v[248:251], v156
	ds_load_b128 v[252:255], v156 offset:400
	ds_load_b128 v[0:3], v156 offset:800
	;; [unrolled: 1-line block ×12, first 2 shown]
	s_and_saveexec_b32 s0, vcc_lo
	s_cbranch_execz .LBB0_11
; %bb.10:
	ds_load_b128 v[200:203], v157 offset:208
	ds_load_b128 v[204:207], v157 offset:608
	;; [unrolled: 1-line block ×13, first 2 shown]
	s_wait_dscnt 0x0
	scratch_store_b128 off, v[44:47], off offset:12 ; 16-byte Folded Spill
.LBB0_11:
	s_wait_alu 0xfffe
	s_or_b32 exec_lo, exec_lo, s0
	s_wait_dscnt 0xb
	v_add_f64_e32 v[44:45], v[248:249], v[252:253]
	v_add_f64_e32 v[46:47], v[250:251], v[254:255]
	s_wait_dscnt 0x5
	v_add_f64_e32 v[48:49], v[42:43], v[38:39]
	s_wait_dscnt 0x3
	v_add_f64_e32 v[72:73], v[22:23], v[26:27]
	v_add_f64_e64 v[74:75], v[22:23], -v[26:27]
	s_wait_dscnt 0x2
	v_add_f64_e32 v[76:77], v[10:11], v[18:19]
	v_add_f64_e64 v[78:79], v[10:11], -v[18:19]
	;; [unrolled: 3-line block ×3, first 2 shown]
	s_mov_b32 s42, 0x4267c47c
	s_mov_b32 s24, 0x42a4c3d2
	;; [unrolled: 1-line block ×25, first 2 shown]
	s_wait_alu 0xfffe
	s_mov_b32 s40, s14
	s_mov_b32 s29, 0x3fddbe06
	;; [unrolled: 1-line block ×4, first 2 shown]
	v_add_f64_e32 v[44:45], v[44:45], v[0:1]
	v_add_f64_e32 v[46:47], v[46:47], v[2:3]
	s_mov_b32 s31, 0x3fedeba7
	s_mov_b32 s28, s42
	;; [unrolled: 1-line block ×6, first 2 shown]
	v_mul_f64_e32 v[138:139], s[0:1], v[48:49]
	global_wb scope:SCOPE_SE
	s_wait_storecnt_dscnt 0x0
	s_barrier_signal -1
	s_barrier_wait -1
	global_inv scope:SCOPE_SE
	v_add_f64_e32 v[44:45], v[44:45], v[8:9]
	v_add_f64_e32 v[46:47], v[46:47], v[10:11]
	;; [unrolled: 1-line block ×3, first 2 shown]
	s_delay_alu instid0(VALU_DEP_3) | instskip(NEXT) | instid1(VALU_DEP_3)
	v_add_f64_e32 v[44:45], v[44:45], v[20:21]
	v_add_f64_e32 v[46:47], v[46:47], v[22:23]
	;; [unrolled: 1-line block ×3, first 2 shown]
	v_add_f64_e64 v[8:9], v[8:9], -v[16:17]
	s_delay_alu instid0(VALU_DEP_4) | instskip(NEXT) | instid1(VALU_DEP_4)
	v_add_f64_e32 v[44:45], v[44:45], v[28:29]
	v_add_f64_e32 v[46:47], v[46:47], v[30:31]
	s_delay_alu instid0(VALU_DEP_2) | instskip(NEXT) | instid1(VALU_DEP_2)
	v_add_f64_e32 v[50:51], v[44:45], v[40:41]
	v_add_f64_e32 v[52:53], v[46:47], v[42:43]
	v_add_f64_e64 v[42:43], v[42:43], -v[38:39]
	v_add_f64_e32 v[46:47], v[40:41], v[36:37]
	v_add_f64_e64 v[40:41], v[40:41], -v[36:37]
	v_add_f64_e64 v[44:45], v[30:31], -v[34:35]
	v_add_f64_e32 v[50:51], v[50:51], v[36:37]
	v_add_f64_e32 v[38:39], v[52:53], v[38:39]
	;; [unrolled: 1-line block ×4, first 2 shown]
	v_add_f64_e64 v[28:29], v[28:29], -v[32:33]
	v_add_f64_e32 v[30:31], v[20:21], v[24:25]
	v_add_f64_e64 v[20:21], v[20:21], -v[24:25]
	v_add_f64_e32 v[32:33], v[50:51], v[32:33]
	v_add_f64_e32 v[34:35], v[38:39], v[34:35]
	s_delay_alu instid0(VALU_DEP_2) | instskip(NEXT) | instid1(VALU_DEP_2)
	v_add_f64_e32 v[24:25], v[32:33], v[24:25]
	v_add_f64_e32 v[26:27], v[34:35], v[26:27]
	s_delay_alu instid0(VALU_DEP_2) | instskip(NEXT) | instid1(VALU_DEP_2)
	v_add_f64_e32 v[24:25], v[24:25], v[16:17]
	v_add_f64_e32 v[18:19], v[26:27], v[18:19]
	v_add_f64_e64 v[16:17], v[0:1], -v[12:13]
	s_delay_alu instid0(VALU_DEP_3) | instskip(NEXT) | instid1(VALU_DEP_3)
	v_add_f64_e32 v[0:1], v[24:25], v[12:13]
	v_add_f64_e32 v[2:3], v[18:19], v[14:15]
	v_add_f64_e64 v[12:13], v[254:255], -v[6:7]
	v_add_f64_e32 v[14:15], v[252:253], v[4:5]
	v_add_f64_e32 v[18:19], v[254:255], v[6:7]
	v_add_f64_e64 v[24:25], v[252:253], -v[4:5]
	v_add_f64_e32 v[0:1], v[0:1], v[4:5]
	v_add_f64_e32 v[2:3], v[2:3], v[6:7]
	v_mul_f64_e32 v[4:5], s[42:43], v[12:13]
	v_mul_f64_e32 v[6:7], s[24:25], v[12:13]
	;; [unrolled: 1-line block ×9, first 2 shown]
	v_fma_f64 v[38:39], v[14:15], s[26:27], v[4:5]
	v_fma_f64 v[4:5], v[14:15], s[26:27], -v[4:5]
	v_fma_f64 v[50:51], v[14:15], s[16:17], v[6:7]
	v_fma_f64 v[6:7], v[14:15], s[16:17], -v[6:7]
	;; [unrolled: 2-line block ×6, first 2 shown]
	v_mul_f64_e32 v[12:13], s[26:27], v[18:19]
	v_mul_f64_e32 v[14:15], s[16:17], v[18:19]
	;; [unrolled: 1-line block ×3, first 2 shown]
	s_wait_alu 0xfffe
	v_fma_f64 v[110:111], v[24:25], s[34:35], v[88:89]
	v_fma_f64 v[88:89], v[24:25], s[22:23], v[88:89]
	;; [unrolled: 1-line block ×6, first 2 shown]
	v_add_f64_e32 v[120:121], v[248:249], v[50:51]
	v_add_f64_e32 v[124:125], v[248:249], v[6:7]
	;; [unrolled: 1-line block ×5, first 2 shown]
	v_mul_f64_e32 v[26:27], s[22:23], v[78:79]
	v_add_f64_e32 v[254:255], v[248:249], v[104:105]
	v_fma_f64 v[94:95], v[24:25], s[28:29], v[12:13]
	v_fma_f64 v[96:97], v[24:25], s[42:43], v[12:13]
	;; [unrolled: 1-line block ×6, first 2 shown]
	v_add_f64_e32 v[24:25], v[248:249], v[38:39]
	v_add_f64_e32 v[12:13], v[248:249], v[4:5]
	;; [unrolled: 1-line block ×3, first 2 shown]
	v_mul_f64_e32 v[110:111], s[20:21], v[84:85]
	v_add_f64_e32 v[92:93], v[250:251], v[114:115]
	v_mul_f64_e32 v[114:115], s[14:15], v[78:79]
	v_add_f64_e32 v[132:133], v[250:251], v[88:89]
	v_add_f64_e32 v[136:137], v[250:251], v[112:113]
	;; [unrolled: 1-line block ×3, first 2 shown]
	v_mul_f64_e32 v[112:113], s[8:9], v[80:81]
	v_add_f64_e32 v[38:39], v[250:251], v[94:95]
	v_add_f64_e32 v[14:15], v[250:251], v[96:97]
	;; [unrolled: 1-line block ×4, first 2 shown]
	v_mul_f64_e32 v[18:19], s[24:25], v[84:85]
	v_add_f64_e32 v[122:123], v[250:251], v[98:99]
	v_add_f64_e32 v[98:99], v[248:249], v[32:33]
	v_fma_f64 v[32:33], v[22:23], s[12:13], v[26:27]
	v_add_f64_e32 v[90:91], v[248:249], v[34:35]
	v_add_f64_e32 v[94:95], v[248:249], v[86:87]
	;; [unrolled: 1-line block ×3, first 2 shown]
	v_fma_f64 v[116:117], v[22:23], s[0:1], v[114:115]
	v_add_f64_e32 v[252:253], v[250:251], v[118:119]
	v_add_f64_e32 v[108:109], v[250:251], v[108:109]
	v_fma_f64 v[106:107], v[16:17], s[30:31], v[112:113]
	v_fma_f64 v[112:113], v[16:17], s[20:21], v[112:113]
	;; [unrolled: 1-line block ×3, first 2 shown]
	s_delay_alu instid0(VALU_DEP_3) | instskip(NEXT) | instid1(VALU_DEP_3)
	v_add_f64_e32 v[106:107], v[106:107], v[122:123]
	v_add_f64_e32 v[108:109], v[112:113], v[108:109]
	v_fma_f64 v[112:113], v[22:23], s[0:1], -v[114:115]
	s_delay_alu instid0(VALU_DEP_4) | instskip(SKIP_1) | instid1(VALU_DEP_2)
	v_add_f64_e32 v[4:5], v[4:5], v[24:25]
	v_mul_f64_e32 v[24:25], s[16:17], v[80:81]
	v_add_f64_e32 v[4:5], v[32:33], v[4:5]
	s_delay_alu instid0(VALU_DEP_2) | instskip(SKIP_1) | instid1(VALU_DEP_2)
	v_fma_f64 v[6:7], v[16:17], s[38:39], v[24:25]
	v_mul_f64_e32 v[32:33], s[12:13], v[76:77]
	v_add_f64_e32 v[6:7], v[6:7], v[38:39]
	s_delay_alu instid0(VALU_DEP_2) | instskip(NEXT) | instid1(VALU_DEP_1)
	v_fma_f64 v[34:35], v[8:9], s[34:35], v[32:33]
	v_add_f64_e32 v[6:7], v[34:35], v[6:7]
	v_mul_f64_e32 v[34:35], s[20:21], v[74:75]
	s_delay_alu instid0(VALU_DEP_1) | instskip(NEXT) | instid1(VALU_DEP_1)
	v_fma_f64 v[38:39], v[30:31], s[8:9], v[34:35]
	v_add_f64_e32 v[4:5], v[38:39], v[4:5]
	v_mul_f64_e32 v[38:39], s[8:9], v[72:73]
	s_delay_alu instid0(VALU_DEP_1) | instskip(NEXT) | instid1(VALU_DEP_1)
	;; [unrolled: 4-line block ×5, first 2 shown]
	v_fma_f64 v[104:105], v[46:47], s[0:1], v[86:87]
	v_add_f64_e32 v[4:5], v[104:105], v[4:5]
	v_fma_f64 v[104:105], v[40:41], s[40:41], v[138:139]
	s_delay_alu instid0(VALU_DEP_1) | instskip(SKIP_2) | instid1(VALU_DEP_2)
	v_add_f64_e32 v[6:7], v[104:105], v[6:7]
	v_fma_f64 v[104:105], v[10:11], s[8:9], v[110:111]
	v_fma_f64 v[110:111], v[10:11], s[8:9], -v[110:111]
	v_add_f64_e32 v[104:105], v[104:105], v[120:121]
	s_delay_alu instid0(VALU_DEP_2) | instskip(NEXT) | instid1(VALU_DEP_2)
	v_add_f64_e32 v[110:111], v[110:111], v[124:125]
	v_add_f64_e32 v[104:105], v[116:117], v[104:105]
	v_mul_f64_e32 v[116:117], s[0:1], v[76:77]
	s_delay_alu instid0(VALU_DEP_3) | instskip(NEXT) | instid1(VALU_DEP_2)
	v_add_f64_e32 v[110:111], v[112:113], v[110:111]
	v_fma_f64 v[118:119], v[8:9], s[40:41], v[116:117]
	v_fma_f64 v[112:113], v[8:9], s[14:15], v[116:117]
	v_mul_f64_e32 v[116:117], s[14:15], v[84:85]
	s_delay_alu instid0(VALU_DEP_3) | instskip(SKIP_1) | instid1(VALU_DEP_4)
	v_add_f64_e32 v[106:107], v[118:119], v[106:107]
	v_mul_f64_e32 v[118:119], s[36:37], v[74:75]
	v_add_f64_e32 v[108:109], v[112:113], v[108:109]
	s_delay_alu instid0(VALU_DEP_2) | instskip(SKIP_2) | instid1(VALU_DEP_3)
	v_fma_f64 v[120:121], v[30:31], s[2:3], v[118:119]
	v_fma_f64 v[112:113], v[30:31], s[2:3], -v[118:119]
	v_mul_f64_e32 v[118:119], s[0:1], v[80:81]
	v_add_f64_e32 v[104:105], v[120:121], v[104:105]
	v_mul_f64_e32 v[120:121], s[2:3], v[72:73]
	s_delay_alu instid0(VALU_DEP_4) | instskip(NEXT) | instid1(VALU_DEP_2)
	v_add_f64_e32 v[110:111], v[112:113], v[110:111]
	v_fma_f64 v[122:123], v[20:21], s[18:19], v[120:121]
	v_fma_f64 v[112:113], v[20:21], s[36:37], v[120:121]
	v_mul_f64_e32 v[120:121], s[30:31], v[78:79]
	s_delay_alu instid0(VALU_DEP_3) | instskip(SKIP_1) | instid1(VALU_DEP_4)
	v_add_f64_e32 v[106:107], v[122:123], v[106:107]
	v_mul_f64_e32 v[122:123], s[34:35], v[44:45]
	v_add_f64_e32 v[108:109], v[112:113], v[108:109]
	s_delay_alu instid0(VALU_DEP_2) | instskip(SKIP_3) | instid1(VALU_DEP_4)
	v_fma_f64 v[250:251], v[36:37], s[12:13], v[122:123]
	v_fma_f64 v[112:113], v[36:37], s[12:13], -v[122:123]
	v_fma_f64 v[122:123], v[22:23], s[8:9], v[120:121]
	v_fma_f64 v[120:121], v[22:23], s[8:9], -v[120:121]
	v_add_f64_e32 v[104:105], v[250:251], v[104:105]
	v_mul_f64_e32 v[250:251], s[12:13], v[52:53]
	v_add_f64_e32 v[110:111], v[112:113], v[110:111]
	s_delay_alu instid0(VALU_DEP_2) | instskip(SKIP_1) | instid1(VALU_DEP_2)
	v_fma_f64 v[140:141], v[28:29], s[22:23], v[250:251]
	v_fma_f64 v[112:113], v[28:29], s[34:35], v[250:251]
	v_add_f64_e32 v[106:107], v[140:141], v[106:107]
	v_mul_f64_e32 v[140:141], s[28:29], v[42:43]
	s_delay_alu instid0(VALU_DEP_3) | instskip(NEXT) | instid1(VALU_DEP_2)
	v_add_f64_e32 v[112:113], v[112:113], v[108:109]
	v_fma_f64 v[142:143], v[46:47], s[26:27], v[140:141]
	v_fma_f64 v[108:109], v[46:47], s[26:27], -v[140:141]
	s_delay_alu instid0(VALU_DEP_2) | instskip(SKIP_1) | instid1(VALU_DEP_3)
	v_add_f64_e32 v[104:105], v[142:143], v[104:105]
	v_mul_f64_e32 v[142:143], s[26:27], v[48:49]
	v_add_f64_e32 v[108:109], v[108:109], v[110:111]
	s_delay_alu instid0(VALU_DEP_2) | instskip(SKIP_1) | instid1(VALU_DEP_2)
	v_fma_f64 v[114:115], v[40:41], s[28:29], v[142:143]
	v_fma_f64 v[144:145], v[40:41], s[42:43], v[142:143]
	v_add_f64_e32 v[110:111], v[114:115], v[112:113]
	v_fma_f64 v[112:113], v[10:11], s[0:1], v[116:117]
	v_fma_f64 v[114:115], v[16:17], s[40:41], v[118:119]
	v_fma_f64 v[116:117], v[10:11], s[0:1], -v[116:117]
	v_fma_f64 v[118:119], v[16:17], s[14:15], v[118:119]
	v_add_f64_e32 v[106:107], v[144:145], v[106:107]
	v_add_f64_e32 v[112:113], v[112:113], v[126:127]
	;; [unrolled: 1-line block ×5, first 2 shown]
	s_delay_alu instid0(VALU_DEP_4) | instskip(SKIP_1) | instid1(VALU_DEP_4)
	v_add_f64_e32 v[112:113], v[122:123], v[112:113]
	v_mul_f64_e32 v[122:123], s[8:9], v[76:77]
	v_add_f64_e32 v[116:117], v[120:121], v[116:117]
	s_delay_alu instid0(VALU_DEP_2) | instskip(SKIP_1) | instid1(VALU_DEP_2)
	v_fma_f64 v[124:125], v[8:9], s[20:21], v[122:123]
	v_fma_f64 v[120:121], v[8:9], s[30:31], v[122:123]
	v_add_f64_e32 v[114:115], v[124:125], v[114:115]
	v_mul_f64_e32 v[124:125], s[28:29], v[74:75]
	s_delay_alu instid0(VALU_DEP_3) | instskip(NEXT) | instid1(VALU_DEP_2)
	v_add_f64_e32 v[118:119], v[120:121], v[118:119]
	v_fma_f64 v[126:127], v[30:31], s[26:27], v[124:125]
	v_fma_f64 v[120:121], v[30:31], s[26:27], -v[124:125]
	v_mul_f64_e32 v[124:125], s[36:37], v[84:85]
	s_delay_alu instid0(VALU_DEP_3) | instskip(SKIP_1) | instid1(VALU_DEP_4)
	v_add_f64_e32 v[112:113], v[126:127], v[112:113]
	v_mul_f64_e32 v[126:127], s[26:27], v[72:73]
	v_add_f64_e32 v[116:117], v[120:121], v[116:117]
	s_delay_alu instid0(VALU_DEP_2) | instskip(SKIP_2) | instid1(VALU_DEP_3)
	v_fma_f64 v[128:129], v[20:21], s[42:43], v[126:127]
	v_fma_f64 v[120:121], v[20:21], s[28:29], v[126:127]
	v_mul_f64_e32 v[126:127], s[2:3], v[80:81]
	v_add_f64_e32 v[114:115], v[128:129], v[114:115]
	v_mul_f64_e32 v[128:129], s[24:25], v[44:45]
	s_delay_alu instid0(VALU_DEP_4) | instskip(NEXT) | instid1(VALU_DEP_2)
	v_add_f64_e32 v[118:119], v[120:121], v[118:119]
	v_fma_f64 v[140:141], v[36:37], s[16:17], v[128:129]
	v_fma_f64 v[120:121], v[36:37], s[16:17], -v[128:129]
	v_mul_f64_e32 v[128:129], s[28:29], v[78:79]
	s_delay_alu instid0(VALU_DEP_3) | instskip(SKIP_1) | instid1(VALU_DEP_4)
	v_add_f64_e32 v[112:113], v[140:141], v[112:113]
	v_mul_f64_e32 v[140:141], s[16:17], v[52:53]
	v_add_f64_e32 v[116:117], v[120:121], v[116:117]
	s_delay_alu instid0(VALU_DEP_4) | instskip(NEXT) | instid1(VALU_DEP_3)
	v_fma_f64 v[130:131], v[22:23], s[26:27], v[128:129]
	v_fma_f64 v[142:143], v[28:29], s[38:39], v[140:141]
	;; [unrolled: 1-line block ×3, first 2 shown]
	s_delay_alu instid0(VALU_DEP_2) | instskip(SKIP_1) | instid1(VALU_DEP_3)
	v_add_f64_e32 v[114:115], v[142:143], v[114:115]
	v_mul_f64_e32 v[142:143], s[18:19], v[42:43]
	v_add_f64_e32 v[118:119], v[120:121], v[118:119]
	s_delay_alu instid0(VALU_DEP_2) | instskip(SKIP_1) | instid1(VALU_DEP_2)
	v_fma_f64 v[144:145], v[46:47], s[2:3], v[142:143]
	v_fma_f64 v[120:121], v[46:47], s[2:3], -v[142:143]
	v_add_f64_e32 v[112:113], v[144:145], v[112:113]
	v_mul_f64_e32 v[144:145], s[2:3], v[48:49]
	s_delay_alu instid0(VALU_DEP_3) | instskip(SKIP_2) | instid1(VALU_DEP_4)
	v_add_f64_e32 v[116:117], v[120:121], v[116:117]
	v_fma_f64 v[120:121], v[10:11], s[2:3], v[124:125]
	v_fma_f64 v[124:125], v[10:11], s[2:3], -v[124:125]
	v_fma_f64 v[122:123], v[40:41], s[18:19], v[144:145]
	v_fma_f64 v[146:147], v[40:41], s[36:37], v[144:145]
	s_delay_alu instid0(VALU_DEP_4) | instskip(NEXT) | instid1(VALU_DEP_4)
	v_add_f64_e32 v[120:121], v[120:121], v[134:135]
	v_add_f64_e32 v[98:99], v[124:125], v[98:99]
	v_fma_f64 v[124:125], v[16:17], s[36:37], v[126:127]
	v_add_f64_e32 v[118:119], v[122:123], v[118:119]
	v_fma_f64 v[122:123], v[16:17], s[18:19], v[126:127]
	v_add_f64_e32 v[120:121], v[130:131], v[120:121]
	v_mul_f64_e32 v[130:131], s[26:27], v[76:77]
	v_add_f64_e32 v[96:97], v[124:125], v[96:97]
	v_fma_f64 v[124:125], v[22:23], s[26:27], -v[128:129]
	v_add_f64_e32 v[114:115], v[146:147], v[114:115]
	v_add_f64_e32 v[122:123], v[122:123], v[136:137]
	v_fma_f64 v[132:133], v[8:9], s[42:43], v[130:131]
	s_delay_alu instid0(VALU_DEP_4) | instskip(SKIP_1) | instid1(VALU_DEP_3)
	v_add_f64_e32 v[98:99], v[124:125], v[98:99]
	v_fma_f64 v[124:125], v[8:9], s[28:29], v[130:131]
	v_add_f64_e32 v[122:123], v[132:133], v[122:123]
	v_mul_f64_e32 v[132:133], s[22:23], v[74:75]
	s_delay_alu instid0(VALU_DEP_3) | instskip(NEXT) | instid1(VALU_DEP_2)
	v_add_f64_e32 v[96:97], v[124:125], v[96:97]
	v_fma_f64 v[134:135], v[30:31], s[12:13], v[132:133]
	v_fma_f64 v[124:125], v[30:31], s[12:13], -v[132:133]
	s_delay_alu instid0(VALU_DEP_2) | instskip(SKIP_1) | instid1(VALU_DEP_3)
	v_add_f64_e32 v[120:121], v[134:135], v[120:121]
	v_mul_f64_e32 v[134:135], s[12:13], v[72:73]
	v_add_f64_e32 v[98:99], v[124:125], v[98:99]
	s_delay_alu instid0(VALU_DEP_2) | instskip(SKIP_1) | instid1(VALU_DEP_2)
	v_fma_f64 v[136:137], v[20:21], s[34:35], v[134:135]
	v_fma_f64 v[124:125], v[20:21], s[22:23], v[134:135]
	v_add_f64_e32 v[122:123], v[136:137], v[122:123]
	v_mul_f64_e32 v[136:137], s[40:41], v[44:45]
	s_delay_alu instid0(VALU_DEP_3) | instskip(NEXT) | instid1(VALU_DEP_2)
	v_add_f64_e32 v[96:97], v[124:125], v[96:97]
	v_fma_f64 v[140:141], v[36:37], s[0:1], v[136:137]
	v_fma_f64 v[124:125], v[36:37], s[0:1], -v[136:137]
	s_delay_alu instid0(VALU_DEP_2) | instskip(SKIP_1) | instid1(VALU_DEP_3)
	v_add_f64_e32 v[120:121], v[140:141], v[120:121]
	v_mul_f64_e32 v[140:141], s[0:1], v[52:53]
	v_add_f64_e32 v[98:99], v[124:125], v[98:99]
	s_delay_alu instid0(VALU_DEP_2) | instskip(SKIP_1) | instid1(VALU_DEP_2)
	v_fma_f64 v[142:143], v[28:29], s[14:15], v[140:141]
	v_fma_f64 v[124:125], v[28:29], s[40:41], v[140:141]
	v_add_f64_e32 v[122:123], v[142:143], v[122:123]
	v_mul_f64_e32 v[142:143], s[38:39], v[42:43]
	s_delay_alu instid0(VALU_DEP_3) | instskip(NEXT) | instid1(VALU_DEP_2)
	v_add_f64_e32 v[124:125], v[124:125], v[96:97]
	v_fma_f64 v[144:145], v[46:47], s[16:17], v[142:143]
	v_fma_f64 v[96:97], v[46:47], s[16:17], -v[142:143]
	s_delay_alu instid0(VALU_DEP_2) | instskip(SKIP_1) | instid1(VALU_DEP_3)
	v_add_f64_e32 v[120:121], v[144:145], v[120:121]
	v_mul_f64_e32 v[144:145], s[16:17], v[48:49]
	v_add_f64_e32 v[96:97], v[96:97], v[98:99]
	s_delay_alu instid0(VALU_DEP_2) | instskip(SKIP_2) | instid1(VALU_DEP_3)
	v_fma_f64 v[126:127], v[40:41], s[38:39], v[144:145]
	v_fma_f64 v[146:147], v[40:41], s[24:25], v[144:145]
	v_mul_f64_e32 v[144:145], s[20:21], v[42:43]
	v_add_f64_e32 v[98:99], v[126:127], v[124:125]
	v_mul_f64_e32 v[124:125], s[34:35], v[84:85]
	s_delay_alu instid0(VALU_DEP_4)
	v_add_f64_e32 v[122:123], v[146:147], v[122:123]
	v_mul_f64_e32 v[146:147], s[8:9], v[48:49]
	v_mul_f64_e32 v[84:85], s[28:29], v[84:85]
	;; [unrolled: 1-line block ×3, first 2 shown]
	v_fma_f64 v[126:127], v[10:11], s[12:13], v[124:125]
	v_fma_f64 v[124:125], v[10:11], s[12:13], -v[124:125]
	s_delay_alu instid0(VALU_DEP_2) | instskip(SKIP_1) | instid1(VALU_DEP_3)
	v_add_f64_e32 v[94:95], v[126:127], v[94:95]
	v_mul_f64_e32 v[126:127], s[12:13], v[80:81]
	v_add_f64_e32 v[90:91], v[124:125], v[90:91]
	v_mul_f64_e32 v[80:81], s[26:27], v[80:81]
	s_delay_alu instid0(VALU_DEP_3) | instskip(SKIP_2) | instid1(VALU_DEP_3)
	v_fma_f64 v[128:129], v[16:17], s[22:23], v[126:127]
	v_fma_f64 v[124:125], v[16:17], s[34:35], v[126:127]
	;; [unrolled: 1-line block ×3, first 2 shown]
	v_add_f64_e32 v[92:93], v[128:129], v[92:93]
	v_mul_f64_e32 v[128:129], s[24:25], v[78:79]
	s_delay_alu instid0(VALU_DEP_4) | instskip(SKIP_1) | instid1(VALU_DEP_3)
	v_add_f64_e32 v[88:89], v[124:125], v[88:89]
	v_mul_f64_e32 v[78:79], s[18:19], v[78:79]
	v_fma_f64 v[130:131], v[22:23], s[16:17], v[128:129]
	v_fma_f64 v[124:125], v[22:23], s[16:17], -v[128:129]
	s_delay_alu instid0(VALU_DEP_3) | instskip(SKIP_1) | instid1(VALU_DEP_4)
	v_fma_f64 v[128:129], v[22:23], s[2:3], v[78:79]
	v_fma_f64 v[78:79], v[22:23], s[2:3], -v[78:79]
	v_add_f64_e32 v[94:95], v[130:131], v[94:95]
	v_mul_f64_e32 v[130:131], s[16:17], v[76:77]
	v_add_f64_e32 v[90:91], v[124:125], v[90:91]
	v_mul_f64_e32 v[76:77], s[2:3], v[76:77]
	s_delay_alu instid0(VALU_DEP_3) | instskip(SKIP_1) | instid1(VALU_DEP_2)
	v_fma_f64 v[132:133], v[8:9], s[38:39], v[130:131]
	v_fma_f64 v[124:125], v[8:9], s[24:25], v[130:131]
	v_add_f64_e32 v[92:93], v[132:133], v[92:93]
	v_mul_f64_e32 v[132:133], s[40:41], v[74:75]
	s_delay_alu instid0(VALU_DEP_3) | instskip(SKIP_1) | instid1(VALU_DEP_3)
	v_add_f64_e32 v[88:89], v[124:125], v[88:89]
	v_mul_f64_e32 v[74:75], s[38:39], v[74:75]
	v_fma_f64 v[134:135], v[30:31], s[0:1], v[132:133]
	v_fma_f64 v[124:125], v[30:31], s[0:1], -v[132:133]
	s_delay_alu instid0(VALU_DEP_2) | instskip(SKIP_1) | instid1(VALU_DEP_3)
	v_add_f64_e32 v[94:95], v[134:135], v[94:95]
	v_mul_f64_e32 v[134:135], s[0:1], v[72:73]
	v_add_f64_e32 v[90:91], v[124:125], v[90:91]
	v_mul_f64_e32 v[72:73], s[16:17], v[72:73]
	s_delay_alu instid0(VALU_DEP_3) | instskip(SKIP_1) | instid1(VALU_DEP_2)
	v_fma_f64 v[136:137], v[20:21], s[14:15], v[134:135]
	v_fma_f64 v[124:125], v[20:21], s[40:41], v[134:135]
	v_add_f64_e32 v[92:93], v[136:137], v[92:93]
	v_mul_f64_e32 v[136:137], s[28:29], v[44:45]
	s_delay_alu instid0(VALU_DEP_3) | instskip(NEXT) | instid1(VALU_DEP_2)
	v_add_f64_e32 v[88:89], v[124:125], v[88:89]
	v_fma_f64 v[140:141], v[36:37], s[26:27], v[136:137]
	v_fma_f64 v[124:125], v[36:37], s[26:27], -v[136:137]
	s_delay_alu instid0(VALU_DEP_2) | instskip(SKIP_1) | instid1(VALU_DEP_3)
	v_add_f64_e32 v[94:95], v[140:141], v[94:95]
	v_mul_f64_e32 v[140:141], s[26:27], v[52:53]
	v_add_f64_e32 v[90:91], v[124:125], v[90:91]
	v_mul_f64_e32 v[52:53], s[8:9], v[52:53]
	s_delay_alu instid0(VALU_DEP_3) | instskip(SKIP_1) | instid1(VALU_DEP_2)
	v_fma_f64 v[124:125], v[28:29], s[28:29], v[140:141]
	v_fma_f64 v[142:143], v[28:29], s[42:43], v[140:141]
	v_add_f64_e32 v[124:125], v[124:125], v[88:89]
	v_fma_f64 v[88:89], v[46:47], s[8:9], -v[144:145]
	s_delay_alu instid0(VALU_DEP_3) | instskip(SKIP_1) | instid1(VALU_DEP_3)
	v_add_f64_e32 v[142:143], v[142:143], v[92:93]
	v_fma_f64 v[92:93], v[46:47], s[8:9], v[144:145]
	v_add_f64_e32 v[88:89], v[88:89], v[90:91]
	v_add_f64_e32 v[90:91], v[126:127], v[124:125]
	v_fma_f64 v[124:125], v[10:11], s[26:27], v[84:85]
	v_fma_f64 v[126:127], v[16:17], s[42:43], v[80:81]
	v_fma_f64 v[84:85], v[10:11], s[26:27], -v[84:85]
	v_fma_f64 v[80:81], v[16:17], s[28:29], v[80:81]
	v_fma_f64 v[10:11], v[10:11], s[16:17], -v[18:19]
	v_fma_f64 v[16:17], v[16:17], s[24:25], v[24:25]
	v_add_f64_e32 v[92:93], v[92:93], v[94:95]
	v_fma_f64 v[94:95], v[40:41], s[30:31], v[146:147]
	v_add_f64_e32 v[124:125], v[124:125], v[254:255]
	v_add_f64_e32 v[126:127], v[126:127], v[252:253]
	v_add_f64_e32 v[84:85], v[84:85], v[248:249]
	v_add_f64_e32 v[80:81], v[80:81], v[82:83]
	v_add_f64_e32 v[10:11], v[10:11], v[12:13]
	v_add_f64_e32 v[12:13], v[16:17], v[14:15]
	v_fma_f64 v[14:15], v[22:23], s[12:13], -v[26:27]
	v_add_f64_e32 v[94:95], v[94:95], v[142:143]
	v_add_f64_e32 v[124:125], v[128:129], v[124:125]
	v_fma_f64 v[128:129], v[8:9], s[36:37], v[76:77]
	v_fma_f64 v[76:77], v[8:9], s[18:19], v[76:77]
	v_fma_f64 v[8:9], v[8:9], s[22:23], v[32:33]
	v_add_f64_e32 v[78:79], v[78:79], v[84:85]
	v_add_nc_u32_e32 v84, 0x340, v156
	v_add_f64_e32 v[10:11], v[14:15], v[10:11]
	v_fma_f64 v[14:15], v[20:21], s[20:21], v[38:39]
	v_add_f64_e32 v[126:127], v[128:129], v[126:127]
	v_fma_f64 v[128:129], v[30:31], s[16:17], v[74:75]
	v_add_f64_e32 v[76:77], v[76:77], v[80:81]
	v_fma_f64 v[74:75], v[30:31], s[16:17], -v[74:75]
	v_add_f64_e32 v[8:9], v[8:9], v[12:13]
	v_fma_f64 v[12:13], v[30:31], s[8:9], -v[34:35]
	v_add_f64_e32 v[124:125], v[128:129], v[124:125]
	v_fma_f64 v[128:129], v[20:21], s[24:25], v[72:73]
	v_fma_f64 v[72:73], v[20:21], s[38:39], v[72:73]
	v_add_f64_e32 v[74:75], v[74:75], v[78:79]
	v_add_f64_e32 v[10:11], v[12:13], v[10:11]
	v_add_f64_e32 v[8:9], v[14:15], v[8:9]
	v_fma_f64 v[12:13], v[36:37], s[2:3], -v[50:51]
	v_fma_f64 v[14:15], v[28:29], s[18:19], v[54:55]
	v_add_f64_e32 v[126:127], v[128:129], v[126:127]
	v_mul_f64_e32 v[128:129], s[20:21], v[44:45]
	v_add_f64_e32 v[72:73], v[72:73], v[76:77]
	v_add_f64_e32 v[10:11], v[12:13], v[10:11]
	;; [unrolled: 1-line block ×3, first 2 shown]
	v_fma_f64 v[8:9], v[46:47], s[0:1], -v[86:87]
	v_fma_f64 v[14:15], v[40:41], s[14:15], v[138:139]
	v_fma_f64 v[44:45], v[36:37], s[8:9], v[128:129]
	v_fma_f64 v[76:77], v[36:37], s[8:9], -v[128:129]
	s_delay_alu instid0(VALU_DEP_4) | instskip(NEXT) | instid1(VALU_DEP_4)
	v_add_f64_e32 v[8:9], v[8:9], v[10:11]
	v_add_f64_e32 v[10:11], v[14:15], v[12:13]
	s_delay_alu instid0(VALU_DEP_4) | instskip(SKIP_3) | instid1(VALU_DEP_3)
	v_add_f64_e32 v[44:45], v[44:45], v[124:125]
	v_fma_f64 v[124:125], v[28:29], s[30:31], v[52:53]
	v_fma_f64 v[52:53], v[28:29], s[20:21], v[52:53]
	v_add_f64_e32 v[74:75], v[76:77], v[74:75]
	v_add_f64_e32 v[124:125], v[124:125], v[126:127]
	v_mul_f64_e32 v[126:127], s[34:35], v[42:43]
	s_delay_alu instid0(VALU_DEP_4) | instskip(NEXT) | instid1(VALU_DEP_2)
	v_add_f64_e32 v[52:53], v[52:53], v[72:73]
	v_fma_f64 v[42:43], v[46:47], s[12:13], v[126:127]
	v_fma_f64 v[72:73], v[46:47], s[12:13], -v[126:127]
	s_delay_alu instid0(VALU_DEP_2) | instskip(SKIP_2) | instid1(VALU_DEP_4)
	v_add_f64_e32 v[42:43], v[42:43], v[44:45]
	v_fma_f64 v[44:45], v[40:41], s[22:23], v[48:49]
	v_fma_f64 v[48:49], v[40:41], s[34:35], v[48:49]
	v_add_f64_e32 v[72:73], v[72:73], v[74:75]
	s_delay_alu instid0(VALU_DEP_3) | instskip(NEXT) | instid1(VALU_DEP_3)
	v_add_f64_e32 v[44:45], v[44:45], v[124:125]
	v_add_f64_e32 v[74:75], v[48:49], v[52:53]
	ds_store_b128 v159, v[4:7] offset:16
	ds_store_b128 v159, v[104:107] offset:32
	;; [unrolled: 1-line block ×7, first 2 shown]
	ds_store_b128 v159, v[0:3]
	ds_store_b128 v159, v[88:91] offset:128
	ds_store_b128 v159, v[96:99] offset:144
	;; [unrolled: 1-line block ×5, first 2 shown]
	s_and_saveexec_b32 s33, vcc_lo
	s_cbranch_execz .LBB0_13
; %bb.12:
	v_add_f64_e32 v[0:1], v[202:203], v[206:207]
	v_add_f64_e32 v[2:3], v[200:201], v[204:205]
	scratch_load_b128 v[30:33], off, off offset:12 th:TH_LOAD_LU ; 16-byte Folded Reload
	v_add_f64_e64 v[93:94], v[208:209], -v[220:221]
	v_add_f64_e64 v[85:86], v[212:213], -v[224:225]
	v_add_f64_e32 v[97:98], v[210:211], v[222:223]
	v_add_f64_e32 v[89:90], v[214:215], v[226:227]
	v_add_f64_e64 v[95:96], v[210:211], -v[222:223]
	v_add_f64_e64 v[87:88], v[214:215], -v[226:227]
	v_add_f64_e32 v[104:105], v[208:209], v[220:221]
	v_add_f64_e32 v[91:92], v[212:213], v[224:225]
	v_add_f64_e64 v[76:77], v[216:217], -v[232:233]
	v_add_f64_e32 v[80:81], v[218:219], v[234:235]
	v_add_f64_e64 v[78:79], v[218:219], -v[234:235]
	;; [unrolled: 2-line block ×3, first 2 shown]
	v_add_f64_e64 v[12:13], v[230:231], -v[242:243]
	v_add_f64_e64 v[4:5], v[236:237], -v[244:245]
	;; [unrolled: 1-line block ×3, first 2 shown]
	v_add_f64_e32 v[0:1], v[0:1], v[210:211]
	v_add_f64_e32 v[2:3], v[2:3], v[208:209]
	v_mul_f64_e32 v[138:139], s[20:21], v[93:94]
	v_mul_f64_e32 v[208:209], s[14:15], v[93:94]
	;; [unrolled: 1-line block ×10, first 2 shown]
	v_add_f64_e32 v[0:1], v[0:1], v[214:215]
	v_add_f64_e32 v[2:3], v[2:3], v[212:213]
	s_delay_alu instid0(VALU_DEP_2) | instskip(NEXT) | instid1(VALU_DEP_2)
	v_add_f64_e32 v[0:1], v[0:1], v[218:219]
	v_add_f64_e32 v[2:3], v[2:3], v[216:217]
	s_delay_alu instid0(VALU_DEP_2) | instskip(NEXT) | instid1(VALU_DEP_2)
	;; [unrolled: 3-line block ×3, first 2 shown]
	v_add_f64_e32 v[8:9], v[0:1], v[238:239]
	v_add_f64_e32 v[10:11], v[2:3], v[236:237]
	;; [unrolled: 1-line block ×4, first 2 shown]
	s_delay_alu instid0(VALU_DEP_4) | instskip(NEXT) | instid1(VALU_DEP_4)
	v_add_f64_e32 v[16:17], v[8:9], v[246:247]
	v_add_f64_e32 v[18:19], v[10:11], v[244:245]
	;; [unrolled: 1-line block ×4, first 2 shown]
	s_delay_alu instid0(VALU_DEP_4) | instskip(NEXT) | instid1(VALU_DEP_4)
	v_add_f64_e32 v[16:17], v[16:17], v[242:243]
	v_add_f64_e32 v[18:19], v[18:19], v[240:241]
	s_delay_alu instid0(VALU_DEP_2) | instskip(NEXT) | instid1(VALU_DEP_2)
	v_add_f64_e32 v[16:17], v[16:17], v[234:235]
	v_add_f64_e32 v[18:19], v[18:19], v[232:233]
	s_wait_loadcnt 0x0
	v_add_f64_e64 v[22:23], v[204:205], -v[30:31]
	v_add_f64_e64 v[24:25], v[206:207], -v[32:33]
	v_add_f64_e32 v[26:27], v[206:207], v[32:33]
	v_add_f64_e32 v[28:29], v[204:205], v[30:31]
	v_mul_f64_e32 v[204:205], s[28:29], v[4:5]
	v_mul_f64_e32 v[206:207], s[28:29], v[6:7]
	v_add_f64_e32 v[16:17], v[16:17], v[226:227]
	v_add_f64_e32 v[18:19], v[18:19], v[224:225]
	v_mul_f64_e32 v[224:225], s[18:19], v[4:5]
	v_mul_f64_e32 v[226:227], s[18:19], v[6:7]
	;; [unrolled: 1-line block ×8, first 2 shown]
	v_add_f64_e32 v[16:17], v[16:17], v[222:223]
	v_add_f64_e32 v[20:21], v[18:19], v[220:221]
	v_fma_f64 v[44:45], v[26:27], s[12:13], v[34:35]
	v_fma_f64 v[34:35], v[26:27], s[12:13], -v[34:35]
	v_fma_f64 v[46:47], v[26:27], s[16:17], v[36:37]
	v_fma_f64 v[36:37], v[26:27], s[16:17], -v[36:37]
	v_fma_f64 v[106:107], v[28:29], s[2:3], -v[50:51]
	v_fma_f64 v[50:51], v[28:29], s[2:3], v[50:51]
	v_fma_f64 v[108:109], v[28:29], s[8:9], -v[52:53]
	v_fma_f64 v[52:53], v[28:29], s[8:9], v[52:53]
	;; [unrolled: 2-line block ×4, first 2 shown]
	v_add_f64_e32 v[18:19], v[16:17], v[32:33]
	v_add_f64_e32 v[16:17], v[20:21], v[30:31]
	v_mul_f64_e32 v[20:21], s[14:15], v[22:23]
	v_mul_f64_e32 v[30:31], s[18:19], v[22:23]
	;; [unrolled: 1-line block ×4, first 2 shown]
	v_add_f64_e32 v[120:121], v[202:203], v[44:45]
	v_add_f64_e32 v[44:45], v[202:203], v[34:35]
	;; [unrolled: 1-line block ×12, first 2 shown]
	v_fma_f64 v[38:39], v[26:27], s[0:1], v[20:21]
	v_fma_f64 v[20:21], v[26:27], s[0:1], -v[20:21]
	v_fma_f64 v[40:41], v[26:27], s[2:3], v[30:31]
	v_fma_f64 v[30:31], v[26:27], s[2:3], -v[30:31]
	;; [unrolled: 2-line block ×4, first 2 shown]
	v_mul_f64_e32 v[26:27], s[14:15], v[24:25]
	v_mul_f64_e32 v[24:25], s[42:43], v[24:25]
	v_add_f64_e32 v[40:41], v[202:203], v[40:41]
	v_add_f64_e32 v[116:117], v[202:203], v[30:31]
	v_mul_f64_e32 v[30:31], s[18:19], v[85:86]
	v_add_f64_e32 v[118:119], v[202:203], v[32:33]
	v_add_f64_e32 v[124:125], v[202:203], v[48:49]
	v_add_f64_e32 v[126:127], v[202:203], v[22:23]
	v_fma_f64 v[74:75], v[28:29], s[0:1], -v[26:27]
	v_fma_f64 v[114:115], v[28:29], s[26:27], -v[24:25]
	v_fma_f64 v[24:25], v[28:29], s[26:27], v[24:25]
	v_fma_f64 v[26:27], v[28:29], s[0:1], v[26:27]
	v_add_f64_e32 v[28:29], v[202:203], v[38:39]
	v_add_f64_e32 v[42:43], v[202:203], v[42:43]
	v_fma_f64 v[32:33], v[89:90], s[2:3], v[30:31]
	v_add_f64_e32 v[38:39], v[200:201], v[74:75]
	v_add_f64_e32 v[74:75], v[202:203], v[20:21]
	;; [unrolled: 1-line block ×3, first 2 shown]
	v_mul_f64_e32 v[24:25], s[28:29], v[93:94]
	v_add_f64_e32 v[26:27], v[200:201], v[26:27]
	v_add_f64_e32 v[114:115], v[200:201], v[114:115]
	v_mul_f64_e32 v[200:201], s[34:35], v[14:15]
	v_mul_f64_e32 v[202:203], s[34:35], v[12:13]
	v_fma_f64 v[20:21], v[97:98], s[26:27], v[24:25]
	v_fma_f64 v[24:25], v[97:98], s[26:27], -v[24:25]
	s_delay_alu instid0(VALU_DEP_2) | instskip(SKIP_1) | instid1(VALU_DEP_3)
	v_add_f64_e32 v[20:21], v[20:21], v[28:29]
	v_mul_f64_e32 v[28:29], s[28:29], v[95:96]
	v_add_f64_e32 v[24:25], v[24:25], v[74:75]
	s_delay_alu instid0(VALU_DEP_3) | instskip(NEXT) | instid1(VALU_DEP_3)
	v_add_f64_e32 v[20:21], v[32:33], v[20:21]
	v_fma_f64 v[22:23], v[104:105], s[26:27], -v[28:29]
	v_mul_f64_e32 v[32:33], s[18:19], v[87:88]
	v_fma_f64 v[28:29], v[104:105], s[26:27], v[28:29]
	s_delay_alu instid0(VALU_DEP_3) | instskip(NEXT) | instid1(VALU_DEP_3)
	v_add_f64_e32 v[22:23], v[22:23], v[38:39]
	v_fma_f64 v[34:35], v[91:92], s[2:3], -v[32:33]
	s_delay_alu instid0(VALU_DEP_3) | instskip(SKIP_2) | instid1(VALU_DEP_4)
	v_add_f64_e32 v[26:27], v[28:29], v[26:27]
	v_fma_f64 v[28:29], v[89:90], s[2:3], -v[30:31]
	v_fma_f64 v[30:31], v[2:3], s[12:13], v[134:135]
	v_add_f64_e32 v[22:23], v[34:35], v[22:23]
	v_mul_f64_e32 v[34:35], s[38:39], v[76:77]
	s_delay_alu instid0(VALU_DEP_4) | instskip(SKIP_2) | instid1(VALU_DEP_4)
	v_add_f64_e32 v[24:25], v[28:29], v[24:25]
	v_fma_f64 v[28:29], v[91:92], s[2:3], v[32:33]
	v_mul_f64_e32 v[32:33], s[34:35], v[93:94]
	v_fma_f64 v[36:37], v[80:81], s[16:17], v[34:35]
	s_delay_alu instid0(VALU_DEP_3) | instskip(SKIP_2) | instid1(VALU_DEP_4)
	v_add_f64_e32 v[26:27], v[28:29], v[26:27]
	v_fma_f64 v[28:29], v[80:81], s[16:17], -v[34:35]
	v_mul_f64_e32 v[34:35], s[34:35], v[95:96]
	v_add_f64_e32 v[20:21], v[36:37], v[20:21]
	v_mul_f64_e32 v[36:37], s[38:39], v[78:79]
	s_delay_alu instid0(VALU_DEP_4) | instskip(NEXT) | instid1(VALU_DEP_2)
	v_add_f64_e32 v[24:25], v[28:29], v[24:25]
	v_fma_f64 v[38:39], v[82:83], s[16:17], -v[36:37]
	v_fma_f64 v[28:29], v[82:83], s[16:17], v[36:37]
	v_mul_f64_e32 v[36:37], s[24:25], v[85:86]
	s_delay_alu instid0(VALU_DEP_3) | instskip(SKIP_1) | instid1(VALU_DEP_4)
	v_add_f64_e32 v[22:23], v[38:39], v[22:23]
	v_mul_f64_e32 v[38:39], s[20:21], v[14:15]
	v_add_f64_e32 v[26:27], v[28:29], v[26:27]
	s_delay_alu instid0(VALU_DEP_2) | instskip(SKIP_3) | instid1(VALU_DEP_4)
	v_fma_f64 v[48:49], v[8:9], s[8:9], v[38:39]
	v_fma_f64 v[28:29], v[8:9], s[8:9], -v[38:39]
	v_fma_f64 v[38:39], v[89:90], s[16:17], v[36:37]
	v_fma_f64 v[36:37], v[89:90], s[16:17], -v[36:37]
	v_add_f64_e32 v[20:21], v[48:49], v[20:21]
	v_mul_f64_e32 v[48:49], s[20:21], v[12:13]
	v_add_f64_e32 v[24:25], v[28:29], v[24:25]
	s_delay_alu instid0(VALU_DEP_2) | instskip(SKIP_1) | instid1(VALU_DEP_2)
	v_fma_f64 v[28:29], v[10:11], s[8:9], v[48:49]
	v_fma_f64 v[130:131], v[10:11], s[8:9], -v[48:49]
	v_add_f64_e32 v[28:29], v[28:29], v[26:27]
	v_fma_f64 v[26:27], v[0:1], s[12:13], -v[132:133]
	s_delay_alu instid0(VALU_DEP_3) | instskip(SKIP_2) | instid1(VALU_DEP_4)
	v_add_f64_e32 v[130:131], v[130:131], v[22:23]
	v_fma_f64 v[22:23], v[0:1], s[12:13], v[132:133]
	v_mul_f64_e32 v[132:133], s[20:21], v[4:5]
	v_add_f64_e32 v[26:27], v[26:27], v[24:25]
	v_add_f64_e32 v[24:25], v[30:31], v[28:29]
	v_fma_f64 v[28:29], v[97:98], s[12:13], v[32:33]
	v_fma_f64 v[30:31], v[104:105], s[12:13], -v[34:35]
	v_fma_f64 v[32:33], v[97:98], s[12:13], -v[32:33]
	v_fma_f64 v[34:35], v[104:105], s[12:13], v[34:35]
	v_add_f64_e32 v[22:23], v[22:23], v[20:21]
	v_fma_f64 v[20:21], v[2:3], s[12:13], -v[134:135]
	v_mul_f64_e32 v[134:135], s[20:21], v[6:7]
	v_add_f64_e32 v[28:29], v[28:29], v[40:41]
	v_add_f64_e32 v[30:31], v[30:31], v[106:107]
	;; [unrolled: 1-line block ×4, first 2 shown]
	v_mul_f64_e32 v[50:51], s[36:37], v[95:96]
	v_add_f64_e32 v[20:21], v[20:21], v[130:131]
	v_mul_f64_e32 v[116:117], s[22:23], v[78:79]
	v_mul_f64_e32 v[95:96], s[24:25], v[95:96]
	v_add_f64_e32 v[28:29], v[38:39], v[28:29]
	v_mul_f64_e32 v[38:39], s[24:25], v[87:88]
	v_add_f64_e32 v[32:33], v[36:37], v[32:33]
	s_delay_alu instid0(VALU_DEP_2) | instskip(SKIP_2) | instid1(VALU_DEP_3)
	v_fma_f64 v[40:41], v[91:92], s[16:17], -v[38:39]
	v_fma_f64 v[36:37], v[91:92], s[16:17], v[38:39]
	v_fma_f64 v[38:39], v[2:3], s[8:9], v[134:135]
	v_add_f64_e32 v[30:31], v[40:41], v[30:31]
	v_mul_f64_e32 v[40:41], s[40:41], v[76:77]
	s_delay_alu instid0(VALU_DEP_4) | instskip(NEXT) | instid1(VALU_DEP_2)
	v_add_f64_e32 v[34:35], v[36:37], v[34:35]
	v_fma_f64 v[48:49], v[80:81], s[0:1], v[40:41]
	v_fma_f64 v[36:37], v[80:81], s[0:1], -v[40:41]
	s_delay_alu instid0(VALU_DEP_2) | instskip(SKIP_1) | instid1(VALU_DEP_3)
	v_add_f64_e32 v[28:29], v[48:49], v[28:29]
	v_mul_f64_e32 v[48:49], s[40:41], v[78:79]
	v_add_f64_e32 v[32:33], v[36:37], v[32:33]
	s_delay_alu instid0(VALU_DEP_2) | instskip(SKIP_3) | instid1(VALU_DEP_4)
	v_fma_f64 v[74:75], v[82:83], s[0:1], -v[48:49]
	v_fma_f64 v[36:37], v[82:83], s[0:1], v[48:49]
	v_mul_f64_e32 v[48:49], s[36:37], v[93:94]
	v_mul_f64_e32 v[93:94], s[24:25], v[93:94]
	v_add_f64_e32 v[30:31], v[74:75], v[30:31]
	v_mul_f64_e32 v[74:75], s[28:29], v[14:15]
	v_add_f64_e32 v[34:35], v[36:37], v[34:35]
	s_delay_alu instid0(VALU_DEP_2) | instskip(SKIP_2) | instid1(VALU_DEP_3)
	v_fma_f64 v[106:107], v[8:9], s[26:27], v[74:75]
	v_fma_f64 v[36:37], v[8:9], s[26:27], -v[74:75]
	v_mul_f64_e32 v[74:75], s[28:29], v[85:86]
	v_add_f64_e32 v[28:29], v[106:107], v[28:29]
	v_mul_f64_e32 v[106:107], s[28:29], v[12:13]
	s_delay_alu instid0(VALU_DEP_4) | instskip(NEXT) | instid1(VALU_DEP_4)
	v_add_f64_e32 v[32:33], v[36:37], v[32:33]
	v_fma_f64 v[40:41], v[89:90], s[26:27], v[74:75]
	s_delay_alu instid0(VALU_DEP_3) | instskip(SKIP_2) | instid1(VALU_DEP_3)
	v_fma_f64 v[36:37], v[10:11], s[26:27], v[106:107]
	v_fma_f64 v[130:131], v[10:11], s[26:27], -v[106:107]
	v_mul_f64_e32 v[106:107], s[28:29], v[87:88]
	v_add_f64_e32 v[36:37], v[36:37], v[34:35]
	v_fma_f64 v[34:35], v[0:1], s[8:9], -v[132:133]
	s_delay_alu instid0(VALU_DEP_4) | instskip(SKIP_2) | instid1(VALU_DEP_4)
	v_add_f64_e32 v[130:131], v[130:131], v[30:31]
	v_fma_f64 v[30:31], v[0:1], s[8:9], v[132:133]
	v_mul_f64_e32 v[132:133], s[40:41], v[12:13]
	v_add_f64_e32 v[34:35], v[34:35], v[32:33]
	v_add_f64_e32 v[32:33], v[38:39], v[36:37]
	v_fma_f64 v[36:37], v[97:98], s[2:3], v[48:49]
	v_fma_f64 v[38:39], v[104:105], s[2:3], -v[50:51]
	v_add_f64_e32 v[30:31], v[30:31], v[28:29]
	v_fma_f64 v[28:29], v[2:3], s[8:9], -v[134:135]
	v_mul_f64_e32 v[134:135], s[38:39], v[4:5]
	v_fma_f64 v[48:49], v[97:98], s[2:3], -v[48:49]
	v_fma_f64 v[50:51], v[104:105], s[2:3], v[50:51]
	v_add_f64_e32 v[36:37], v[36:37], v[42:43]
	v_add_f64_e32 v[38:39], v[38:39], v[108:109]
	v_mul_f64_e32 v[108:109], s[22:23], v[76:77]
	v_add_f64_e32 v[28:29], v[28:29], v[130:131]
	v_mul_f64_e32 v[130:131], s[40:41], v[14:15]
	v_fma_f64 v[42:43], v[104:105], s[8:9], v[140:141]
	v_add_f64_e32 v[48:49], v[48:49], v[118:119]
	v_add_f64_e32 v[50:51], v[50:51], v[52:53]
	v_fma_f64 v[52:53], v[89:90], s[26:27], -v[74:75]
	v_fma_f64 v[74:75], v[2:3], s[16:17], v[136:137]
	v_add_f64_e32 v[36:37], v[40:41], v[36:37]
	v_fma_f64 v[40:41], v[91:92], s[26:27], -v[106:107]
	v_add_f64_e32 v[42:43], v[42:43], v[72:73]
	v_mul_f64_e32 v[72:73], s[14:15], v[85:86]
	v_add_f64_e32 v[48:49], v[52:53], v[48:49]
	v_fma_f64 v[52:53], v[91:92], s[26:27], v[106:107]
	v_fma_f64 v[106:107], v[2:3], s[2:3], -v[226:227]
	v_add_f64_e32 v[38:39], v[40:41], v[38:39]
	v_fma_f64 v[40:41], v[80:81], s[12:13], v[108:109]
	s_delay_alu instid0(VALU_DEP_4) | instskip(SKIP_2) | instid1(VALU_DEP_4)
	v_add_f64_e32 v[50:51], v[52:53], v[50:51]
	v_fma_f64 v[52:53], v[80:81], s[12:13], -v[108:109]
	v_fma_f64 v[108:109], v[2:3], s[26:27], -v[206:207]
	v_add_f64_e32 v[36:37], v[40:41], v[36:37]
	v_fma_f64 v[40:41], v[82:83], s[12:13], -v[116:117]
	s_delay_alu instid0(VALU_DEP_4) | instskip(SKIP_1) | instid1(VALU_DEP_3)
	v_add_f64_e32 v[48:49], v[52:53], v[48:49]
	v_fma_f64 v[52:53], v[82:83], s[12:13], v[116:117]
	v_add_f64_e32 v[38:39], v[40:41], v[38:39]
	v_fma_f64 v[40:41], v[8:9], s[0:1], v[130:131]
	s_delay_alu instid0(VALU_DEP_3) | instskip(SKIP_1) | instid1(VALU_DEP_3)
	v_add_f64_e32 v[50:51], v[52:53], v[50:51]
	v_fma_f64 v[52:53], v[8:9], s[0:1], -v[130:131]
	v_add_f64_e32 v[36:37], v[40:41], v[36:37]
	v_fma_f64 v[40:41], v[10:11], s[0:1], -v[132:133]
	s_delay_alu instid0(VALU_DEP_3) | instskip(SKIP_1) | instid1(VALU_DEP_3)
	v_add_f64_e32 v[48:49], v[52:53], v[48:49]
	v_fma_f64 v[52:53], v[10:11], s[0:1], v[132:133]
	v_add_f64_e32 v[40:41], v[40:41], v[38:39]
	v_fma_f64 v[38:39], v[0:1], s[16:17], v[134:135]
	s_delay_alu instid0(VALU_DEP_3) | instskip(SKIP_1) | instid1(VALU_DEP_3)
	v_add_f64_e32 v[52:53], v[52:53], v[50:51]
	v_fma_f64 v[50:51], v[0:1], s[16:17], -v[134:135]
	v_add_f64_e32 v[38:39], v[38:39], v[36:37]
	v_fma_f64 v[36:37], v[2:3], s[16:17], -v[136:137]
	s_delay_alu instid0(VALU_DEP_3)
	v_add_f64_e32 v[50:51], v[50:51], v[48:49]
	v_add_f64_e32 v[48:49], v[74:75], v[52:53]
	v_fma_f64 v[52:53], v[97:98], s[0:1], v[208:209]
	v_fma_f64 v[74:75], v[104:105], s[0:1], -v[210:211]
	v_add_f64_e32 v[36:37], v[36:37], v[40:41]
	v_fma_f64 v[40:41], v[97:98], s[8:9], -v[138:139]
	s_delay_alu instid0(VALU_DEP_4) | instskip(NEXT) | instid1(VALU_DEP_4)
	v_add_f64_e32 v[52:53], v[52:53], v[120:121]
	v_add_f64_e32 v[74:75], v[74:75], v[110:111]
	s_delay_alu instid0(VALU_DEP_3) | instskip(SKIP_2) | instid1(VALU_DEP_2)
	v_add_f64_e32 v[40:41], v[40:41], v[46:47]
	v_fma_f64 v[46:47], v[89:90], s[0:1], -v[72:73]
	v_fma_f64 v[72:73], v[89:90], s[0:1], v[72:73]
	v_add_f64_e32 v[40:41], v[46:47], v[40:41]
	v_fma_f64 v[46:47], v[91:92], s[0:1], v[142:143]
	s_delay_alu instid0(VALU_DEP_1) | instskip(SKIP_1) | instid1(VALU_DEP_1)
	v_add_f64_e32 v[42:43], v[46:47], v[42:43]
	v_fma_f64 v[46:47], v[80:81], s[2:3], -v[144:145]
	v_add_f64_e32 v[40:41], v[46:47], v[40:41]
	v_fma_f64 v[46:47], v[82:83], s[2:3], v[146:147]
	s_delay_alu instid0(VALU_DEP_1) | instskip(SKIP_1) | instid1(VALU_DEP_1)
	v_add_f64_e32 v[42:43], v[46:47], v[42:43]
	v_fma_f64 v[46:47], v[8:9], s[12:13], -v[200:201]
	;; [unrolled: 5-line block ×4, first 2 shown]
	v_add_f64_e32 v[44:45], v[46:47], v[44:45]
	v_fma_f64 v[46:47], v[104:105], s[0:1], v[210:211]
	s_delay_alu instid0(VALU_DEP_1) | instskip(SKIP_2) | instid1(VALU_DEP_2)
	v_add_f64_e32 v[46:47], v[46:47], v[54:55]
	v_mul_f64_e32 v[54:55], s[30:31], v[85:86]
	v_mul_f64_e32 v[85:86], s[22:23], v[85:86]
	v_fma_f64 v[212:213], v[89:90], s[8:9], -v[54:55]
	v_fma_f64 v[54:55], v[89:90], s[8:9], v[54:55]
	s_delay_alu instid0(VALU_DEP_3) | instskip(SKIP_1) | instid1(VALU_DEP_4)
	v_fma_f64 v[110:111], v[89:90], s[12:13], -v[85:86]
	v_fma_f64 v[85:86], v[89:90], s[12:13], v[85:86]
	v_add_f64_e32 v[44:45], v[212:213], v[44:45]
	v_mul_f64_e32 v[212:213], s[30:31], v[87:88]
	v_add_f64_e32 v[52:53], v[54:55], v[52:53]
	v_mul_f64_e32 v[87:88], s[22:23], v[87:88]
	s_delay_alu instid0(VALU_DEP_3) | instskip(SKIP_1) | instid1(VALU_DEP_2)
	v_fma_f64 v[214:215], v[91:92], s[8:9], v[212:213]
	v_fma_f64 v[54:55], v[91:92], s[8:9], -v[212:213]
	v_add_f64_e32 v[46:47], v[214:215], v[46:47]
	v_mul_f64_e32 v[214:215], s[28:29], v[76:77]
	s_delay_alu instid0(VALU_DEP_3) | instskip(SKIP_1) | instid1(VALU_DEP_3)
	v_add_f64_e32 v[54:55], v[54:55], v[74:75]
	v_mul_f64_e32 v[76:77], s[20:21], v[76:77]
	v_fma_f64 v[216:217], v[80:81], s[26:27], -v[214:215]
	v_fma_f64 v[74:75], v[80:81], s[26:27], v[214:215]
	s_delay_alu instid0(VALU_DEP_2) | instskip(SKIP_1) | instid1(VALU_DEP_3)
	v_add_f64_e32 v[44:45], v[216:217], v[44:45]
	v_mul_f64_e32 v[216:217], s[28:29], v[78:79]
	v_add_f64_e32 v[52:53], v[74:75], v[52:53]
	v_mul_f64_e32 v[78:79], s[20:21], v[78:79]
	s_delay_alu instid0(VALU_DEP_3) | instskip(SKIP_1) | instid1(VALU_DEP_2)
	v_fma_f64 v[218:219], v[82:83], s[26:27], v[216:217]
	v_fma_f64 v[74:75], v[82:83], s[26:27], -v[216:217]
	v_add_f64_e32 v[46:47], v[218:219], v[46:47]
	v_mul_f64_e32 v[218:219], s[24:25], v[14:15]
	s_delay_alu instid0(VALU_DEP_3) | instskip(SKIP_1) | instid1(VALU_DEP_3)
	v_add_f64_e32 v[54:55], v[74:75], v[54:55]
	v_mul_f64_e32 v[14:15], s[18:19], v[14:15]
	v_fma_f64 v[220:221], v[8:9], s[16:17], -v[218:219]
	v_fma_f64 v[74:75], v[8:9], s[16:17], v[218:219]
	s_delay_alu instid0(VALU_DEP_2) | instskip(SKIP_1) | instid1(VALU_DEP_3)
	v_add_f64_e32 v[44:45], v[220:221], v[44:45]
	v_mul_f64_e32 v[220:221], s[24:25], v[12:13]
	v_add_f64_e32 v[52:53], v[74:75], v[52:53]
	v_mul_f64_e32 v[12:13], s[18:19], v[12:13]
	s_delay_alu instid0(VALU_DEP_3) | instskip(SKIP_1) | instid1(VALU_DEP_2)
	v_fma_f64 v[74:75], v[10:11], s[16:17], -v[220:221]
	v_fma_f64 v[222:223], v[10:11], s[16:17], v[220:221]
	v_add_f64_e32 v[74:75], v[74:75], v[54:55]
	v_fma_f64 v[54:55], v[0:1], s[2:3], v[224:225]
	s_delay_alu instid0(VALU_DEP_3) | instskip(SKIP_1) | instid1(VALU_DEP_3)
	v_add_f64_e32 v[222:223], v[222:223], v[46:47]
	v_fma_f64 v[46:47], v[0:1], s[2:3], -v[224:225]
	v_add_f64_e32 v[54:55], v[54:55], v[52:53]
	v_add_f64_e32 v[52:53], v[106:107], v[74:75]
	v_fma_f64 v[74:75], v[97:98], s[8:9], v[138:139]
	v_fma_f64 v[106:107], v[104:105], s[8:9], -v[140:141]
	v_add_f64_e32 v[46:47], v[46:47], v[44:45]
	v_fma_f64 v[44:45], v[2:3], s[2:3], v[226:227]
	s_delay_alu instid0(VALU_DEP_4) | instskip(NEXT) | instid1(VALU_DEP_4)
	v_add_f64_e32 v[74:75], v[74:75], v[122:123]
	v_add_f64_e32 v[106:107], v[106:107], v[112:113]
	v_mul_f64_e32 v[112:113], s[14:15], v[6:7]
	s_delay_alu instid0(VALU_DEP_4) | instskip(NEXT) | instid1(VALU_DEP_4)
	v_add_f64_e32 v[44:45], v[44:45], v[222:223]
	v_add_f64_e32 v[72:73], v[72:73], v[74:75]
	v_fma_f64 v[74:75], v[91:92], s[0:1], -v[142:143]
	s_delay_alu instid0(VALU_DEP_1) | instskip(SKIP_1) | instid1(VALU_DEP_1)
	v_add_f64_e32 v[74:75], v[74:75], v[106:107]
	v_fma_f64 v[106:107], v[80:81], s[2:3], v[144:145]
	v_add_f64_e32 v[72:73], v[106:107], v[72:73]
	v_fma_f64 v[106:107], v[82:83], s[2:3], -v[146:147]
	s_delay_alu instid0(VALU_DEP_1) | instskip(SKIP_1) | instid1(VALU_DEP_1)
	v_add_f64_e32 v[74:75], v[106:107], v[74:75]
	v_fma_f64 v[106:107], v[8:9], s[12:13], v[200:201]
	;; [unrolled: 5-line block ×3, first 2 shown]
	v_add_f64_e32 v[74:75], v[74:75], v[72:73]
	s_delay_alu instid0(VALU_DEP_3) | instskip(SKIP_4) | instid1(VALU_DEP_4)
	v_add_f64_e32 v[72:73], v[108:109], v[106:107]
	v_fma_f64 v[106:107], v[97:98], s[16:17], -v[93:94]
	v_fma_f64 v[108:109], v[104:105], s[16:17], v[95:96]
	v_fma_f64 v[93:94], v[97:98], s[16:17], v[93:94]
	v_fma_f64 v[95:96], v[104:105], s[16:17], -v[95:96]
	v_add_f64_e32 v[106:107], v[106:107], v[126:127]
	s_delay_alu instid0(VALU_DEP_4) | instskip(NEXT) | instid1(VALU_DEP_4)
	v_add_f64_e32 v[108:109], v[108:109], v[128:129]
	v_add_f64_e32 v[89:90], v[93:94], v[124:125]
	s_delay_alu instid0(VALU_DEP_3) | instskip(SKIP_3) | instid1(VALU_DEP_3)
	v_add_f64_e32 v[106:107], v[110:111], v[106:107]
	v_fma_f64 v[110:111], v[91:92], s[12:13], v[87:88]
	v_fma_f64 v[87:88], v[91:92], s[12:13], -v[87:88]
	v_add_f64_e32 v[91:92], v[95:96], v[114:115]
	v_add_f64_e32 v[108:109], v[110:111], v[108:109]
	v_fma_f64 v[110:111], v[80:81], s[8:9], -v[76:77]
	v_fma_f64 v[76:77], v[80:81], s[8:9], v[76:77]
	v_add_f64_e32 v[80:81], v[85:86], v[89:90]
	s_delay_alu instid0(VALU_DEP_3) | instskip(SKIP_3) | instid1(VALU_DEP_3)
	v_add_f64_e32 v[106:107], v[110:111], v[106:107]
	v_fma_f64 v[110:111], v[82:83], s[8:9], v[78:79]
	v_fma_f64 v[78:79], v[82:83], s[8:9], -v[78:79]
	v_add_f64_e32 v[82:83], v[87:88], v[91:92]
	v_add_f64_e32 v[108:109], v[110:111], v[108:109]
	v_fma_f64 v[110:111], v[8:9], s[2:3], -v[14:15]
	v_fma_f64 v[8:9], v[8:9], s[2:3], v[14:15]
	s_delay_alu instid0(VALU_DEP_4) | instskip(NEXT) | instid1(VALU_DEP_3)
	v_add_f64_e32 v[14:15], v[78:79], v[82:83]
	v_add_f64_e32 v[106:107], v[110:111], v[106:107]
	v_fma_f64 v[110:111], v[10:11], s[2:3], v[12:13]
	v_fma_f64 v[10:11], v[10:11], s[2:3], -v[12:13]
	v_add_f64_e32 v[12:13], v[76:77], v[80:81]
	v_fma_f64 v[76:77], v[2:3], s[0:1], -v[112:113]
	s_delay_alu instid0(VALU_DEP_4) | instskip(SKIP_1) | instid1(VALU_DEP_1)
	v_add_f64_e32 v[108:109], v[110:111], v[108:109]
	v_mul_f64_e32 v[110:111], s[14:15], v[4:5]
	v_fma_f64 v[4:5], v[0:1], s[0:1], -v[110:111]
	v_fma_f64 v[0:1], v[0:1], s[0:1], v[110:111]
	s_delay_alu instid0(VALU_DEP_2) | instskip(SKIP_3) | instid1(VALU_DEP_3)
	v_add_f64_e32 v[6:7], v[4:5], v[106:107]
	v_fma_f64 v[4:5], v[2:3], s[0:1], v[112:113]
	v_add_f64_e32 v[2:3], v[8:9], v[12:13]
	v_add_f64_e32 v[8:9], v[10:11], v[14:15]
	;; [unrolled: 1-line block ×3, first 2 shown]
	s_delay_alu instid0(VALU_DEP_3) | instskip(NEXT) | instid1(VALU_DEP_3)
	v_add_f64_e32 v[2:3], v[0:1], v[2:3]
	v_add_f64_e32 v[0:1], v[76:77], v[8:9]
	s_clause 0x1
	scratch_load_b32 v8, off, off offset:560 th:TH_LOAD_LU
	scratch_load_b32 v9, off, off offset:564 th:TH_LOAD_LU
	s_wait_loadcnt 0x0
	v_lshl_add_u32 v8, v9, 4, v8
	ds_store_b128 v8, v[40:43] offset:32
	ds_store_b128 v8, v[44:47] offset:48
	;; [unrolled: 1-line block ×11, first 2 shown]
	ds_store_b128 v8, v[16:19]
	ds_store_b128 v8, v[0:3] offset:192
.LBB0_13:
	s_or_b32 exec_lo, exec_lo, s33
	global_wb scope:SCOPE_SE
	s_wait_dscnt 0x0
	s_barrier_signal -1
	s_barrier_wait -1
	global_inv scope:SCOPE_SE
	ds_load_b128 v[0:3], v156 offset:1040
	s_clause 0x1
	scratch_load_b128 v[6:9], off, off offset:244 th:TH_LOAD_LU
	scratch_load_b128 v[36:39], off, off offset:444 th:TH_LOAD_LU
	s_mov_b32 s0, 0x134454ff
	s_mov_b32 s1, 0xbfee6f0e
	;; [unrolled: 1-line block ×3, first 2 shown]
	s_wait_alu 0xfffe
	s_mov_b32 s8, s0
	s_mov_b32 s2, 0x4755a5e
	;; [unrolled: 1-line block ×4, first 2 shown]
	s_wait_alu 0xfffe
	s_mov_b32 s12, s2
	s_mov_b32 s14, 0x372fe950
	;; [unrolled: 1-line block ×3, first 2 shown]
	scratch_load_b128 v[12:15], off, off offset:460 th:TH_LOAD_LU ; 16-byte Folded Reload
	s_wait_dscnt 0x0
	v_mul_f64_e32 v[4:5], v[70:71], v[2:3]
	s_delay_alu instid0(VALU_DEP_1) | instskip(SKIP_1) | instid1(VALU_DEP_1)
	v_fma_f64 v[74:75], v[68:69], v[0:1], v[4:5]
	v_mul_f64_e32 v[0:1], v[70:71], v[0:1]
	v_fma_f64 v[76:77], v[68:69], v[2:3], -v[0:1]
	ds_load_b128 v[0:3], v156 offset:1248
	s_wait_dscnt 0x0
	v_mul_f64_e32 v[4:5], v[70:71], v[2:3]
	s_delay_alu instid0(VALU_DEP_1) | instskip(SKIP_1) | instid1(VALU_DEP_1)
	v_fma_f64 v[72:73], v[68:69], v[0:1], v[4:5]
	v_mul_f64_e32 v[0:1], v[70:71], v[0:1]
	v_fma_f64 v[68:69], v[68:69], v[2:3], -v[0:1]
	ds_load_b128 v[0:3], v156 offset:2080
	s_wait_dscnt 0x0
	v_mul_f64_e32 v[4:5], v[66:67], v[2:3]
	s_delay_alu instid0(VALU_DEP_1) | instskip(SKIP_1) | instid1(VALU_DEP_1)
	v_fma_f64 v[70:71], v[64:65], v[0:1], v[4:5]
	v_mul_f64_e32 v[0:1], v[66:67], v[0:1]
	v_fma_f64 v[78:79], v[64:65], v[2:3], -v[0:1]
	ds_load_b128 v[0:3], v156 offset:2288
	s_wait_dscnt 0x0
	v_mul_f64_e32 v[4:5], v[66:67], v[2:3]
	s_delay_alu instid0(VALU_DEP_1) | instskip(SKIP_1) | instid1(VALU_DEP_1)
	v_fma_f64 v[82:83], v[64:65], v[0:1], v[4:5]
	v_mul_f64_e32 v[0:1], v[66:67], v[0:1]
	v_fma_f64 v[89:90], v[64:65], v[2:3], -v[0:1]
	ds_load_b128 v[0:3], v156 offset:3120
	s_wait_dscnt 0x0
	v_mul_f64_e32 v[4:5], v[62:63], v[2:3]
	s_delay_alu instid0(VALU_DEP_1) | instskip(SKIP_1) | instid1(VALU_DEP_2)
	v_fma_f64 v[64:65], v[60:61], v[0:1], v[4:5]
	v_mul_f64_e32 v[0:1], v[62:63], v[0:1]
	v_add_f64_e64 v[108:109], v[70:71], -v[64:65]
	s_delay_alu instid0(VALU_DEP_2) | instskip(SKIP_4) | instid1(VALU_DEP_2)
	v_fma_f64 v[66:67], v[60:61], v[2:3], -v[0:1]
	ds_load_b128 v[0:3], v156 offset:3328
	s_wait_dscnt 0x0
	v_mul_f64_e32 v[4:5], v[62:63], v[2:3]
	v_add_f64_e64 v[104:105], v[78:79], -v[66:67]
	v_fma_f64 v[91:92], v[60:61], v[0:1], v[4:5]
	v_mul_f64_e32 v[0:1], v[62:63], v[0:1]
	s_delay_alu instid0(VALU_DEP_2) | instskip(NEXT) | instid1(VALU_DEP_2)
	v_add_f64_e64 v[112:113], v[82:83], -v[91:92]
	v_fma_f64 v[93:94], v[60:61], v[2:3], -v[0:1]
	ds_load_b128 v[0:3], v156 offset:4160
	s_wait_dscnt 0x0
	v_mul_f64_e32 v[4:5], v[58:59], v[2:3]
	s_delay_alu instid0(VALU_DEP_1) | instskip(SKIP_1) | instid1(VALU_DEP_2)
	v_fma_f64 v[60:61], v[56:57], v[0:1], v[4:5]
	v_mul_f64_e32 v[0:1], v[58:59], v[0:1]
	v_add_f64_e64 v[106:107], v[74:75], -v[60:61]
	s_delay_alu instid0(VALU_DEP_2) | instskip(SKIP_4) | instid1(VALU_DEP_2)
	v_fma_f64 v[62:63], v[56:57], v[2:3], -v[0:1]
	ds_load_b128 v[0:3], v156 offset:4368
	s_wait_dscnt 0x0
	v_mul_f64_e32 v[4:5], v[58:59], v[2:3]
	v_add_f64_e64 v[87:88], v[76:77], -v[62:63]
	v_fma_f64 v[95:96], v[56:57], v[0:1], v[4:5]
	v_mul_f64_e32 v[0:1], v[58:59], v[0:1]
	s_delay_alu instid0(VALU_DEP_2) | instskip(NEXT) | instid1(VALU_DEP_2)
	v_add_f64_e64 v[110:111], v[72:73], -v[95:96]
	v_fma_f64 v[97:98], v[56:57], v[2:3], -v[0:1]
	ds_load_b128 v[0:3], v156 offset:1456
	ds_load_b128 v[56:59], v156
	s_wait_loadcnt_dscnt 0x201
	v_mul_f64_e32 v[4:5], v[8:9], v[2:3]
	s_delay_alu instid0(VALU_DEP_1) | instskip(SKIP_1) | instid1(VALU_DEP_1)
	v_fma_f64 v[42:43], v[6:7], v[0:1], v[4:5]
	v_mul_f64_e32 v[0:1], v[8:9], v[0:1]
	v_fma_f64 v[40:41], v[6:7], v[2:3], -v[0:1]
	scratch_load_b128 v[6:9], off, off offset:376 th:TH_LOAD_LU ; 16-byte Folded Reload
	ds_load_b128 v[0:3], v156 offset:2496
	s_wait_loadcnt_dscnt 0x0
	v_mul_f64_e32 v[4:5], v[8:9], v[2:3]
	s_delay_alu instid0(VALU_DEP_1) | instskip(SKIP_1) | instid1(VALU_DEP_1)
	v_fma_f64 v[46:47], v[6:7], v[0:1], v[4:5]
	v_mul_f64_e32 v[0:1], v[8:9], v[0:1]
	v_fma_f64 v[44:45], v[6:7], v[2:3], -v[0:1]
	scratch_load_b128 v[6:9], off, off offset:396 th:TH_LOAD_LU ; 16-byte Folded Reload
	ds_load_b128 v[0:3], v156 offset:3536
	s_wait_loadcnt_dscnt 0x0
	v_mul_f64_e32 v[4:5], v[8:9], v[2:3]
	s_delay_alu instid0(VALU_DEP_1) | instskip(SKIP_1) | instid1(VALU_DEP_2)
	v_fma_f64 v[50:51], v[6:7], v[0:1], v[4:5]
	v_mul_f64_e32 v[0:1], v[8:9], v[0:1]
	v_add_f64_e64 v[116:117], v[46:47], -v[50:51]
	s_delay_alu instid0(VALU_DEP_2) | instskip(SKIP_4) | instid1(VALU_DEP_1)
	v_fma_f64 v[48:49], v[6:7], v[2:3], -v[0:1]
	scratch_load_b128 v[6:9], off, off offset:428 th:TH_LOAD_LU ; 16-byte Folded Reload
	ds_load_b128 v[0:3], v156 offset:4576
	s_wait_loadcnt_dscnt 0x0
	v_mul_f64_e32 v[4:5], v[8:9], v[2:3]
	v_fma_f64 v[54:55], v[6:7], v[0:1], v[4:5]
	v_mul_f64_e32 v[0:1], v[8:9], v[0:1]
	s_delay_alu instid0(VALU_DEP_2) | instskip(NEXT) | instid1(VALU_DEP_2)
	v_add_f64_e64 v[118:119], v[42:43], -v[54:55]
	v_fma_f64 v[52:53], v[6:7], v[2:3], -v[0:1]
	scratch_load_b128 v[6:9], off, off offset:540 th:TH_LOAD_LU ; 16-byte Folded Reload
	ds_load_b128 v[0:3], v156 offset:1664
	s_wait_loadcnt_dscnt 0x0
	v_mul_f64_e32 v[4:5], v[8:9], v[2:3]
	s_delay_alu instid0(VALU_DEP_1) | instskip(SKIP_1) | instid1(VALU_DEP_1)
	v_fma_f64 v[22:23], v[6:7], v[0:1], v[4:5]
	v_mul_f64_e32 v[0:1], v[8:9], v[0:1]
	v_fma_f64 v[20:21], v[6:7], v[2:3], -v[0:1]
	scratch_load_b128 v[6:9], off, off offset:508 th:TH_LOAD_LU ; 16-byte Folded Reload
	ds_load_b128 v[0:3], v156 offset:2704
	s_wait_loadcnt_dscnt 0x0
	v_mul_f64_e32 v[4:5], v[8:9], v[2:3]
	s_delay_alu instid0(VALU_DEP_1) | instskip(SKIP_1) | instid1(VALU_DEP_1)
	v_fma_f64 v[26:27], v[6:7], v[0:1], v[4:5]
	v_mul_f64_e32 v[0:1], v[8:9], v[0:1]
	;; [unrolled: 8-line block ×5, first 2 shown]
	v_fma_f64 v[8:9], v[6:7], v[2:3], -v[0:1]
	ds_load_b128 v[0:3], v156 offset:2912
	s_wait_dscnt 0x0
	v_mul_f64_e32 v[4:5], v[14:15], v[2:3]
	s_delay_alu instid0(VALU_DEP_1) | instskip(SKIP_1) | instid1(VALU_DEP_1)
	v_fma_f64 v[16:17], v[12:13], v[0:1], v[4:5]
	v_mul_f64_e32 v[0:1], v[14:15], v[0:1]
	v_fma_f64 v[12:13], v[12:13], v[2:3], -v[0:1]
	ds_load_b128 v[0:3], v156 offset:3952
	s_wait_dscnt 0x0
	v_mul_f64_e32 v[4:5], v[38:39], v[2:3]
	s_delay_alu instid0(VALU_DEP_1) | instskip(SKIP_1) | instid1(VALU_DEP_1)
	v_fma_f64 v[18:19], v[36:37], v[0:1], v[4:5]
	v_mul_f64_e32 v[0:1], v[38:39], v[0:1]
	;; [unrolled: 7-line block ×3, first 2 shown]
	v_fma_f64 v[36:37], v[196:197], v[2:3], -v[0:1]
	v_add_f64_e64 v[0:1], v[74:75], -v[70:71]
	v_add_f64_e64 v[2:3], v[60:61], -v[64:65]
	s_delay_alu instid0(VALU_DEP_1) | instskip(SKIP_2) | instid1(VALU_DEP_1)
	v_add_f64_e32 v[4:5], v[0:1], v[2:3]
	v_add_f64_e64 v[0:1], v[76:77], -v[78:79]
	v_add_f64_e64 v[2:3], v[62:63], -v[66:67]
	v_add_f64_e32 v[6:7], v[0:1], v[2:3]
	v_add_f64_e32 v[0:1], v[70:71], v[64:65]
	s_delay_alu instid0(VALU_DEP_1) | instskip(SKIP_1) | instid1(VALU_DEP_1)
	v_fma_f64 v[80:81], v[0:1], -0.5, v[56:57]
	v_add_f64_e32 v[0:1], v[78:79], v[66:67]
	v_fma_f64 v[85:86], v[0:1], -0.5, v[58:59]
	s_delay_alu instid0(VALU_DEP_3) | instskip(SKIP_1) | instid1(VALU_DEP_3)
	v_fma_f64 v[0:1], v[87:88], s[0:1], v[80:81]
	v_fma_f64 v[80:81], v[87:88], s[8:9], v[80:81]
	v_fma_f64 v[2:3], v[106:107], s[8:9], v[85:86]
	v_fma_f64 v[85:86], v[106:107], s[0:1], v[85:86]
	s_delay_alu instid0(VALU_DEP_4) | instskip(SKIP_1) | instid1(VALU_DEP_4)
	v_fma_f64 v[0:1], v[104:105], s[2:3], v[0:1]
	s_wait_alu 0xfffe
	v_fma_f64 v[80:81], v[104:105], s[12:13], v[80:81]
	s_delay_alu instid0(VALU_DEP_4) | instskip(NEXT) | instid1(VALU_DEP_4)
	v_fma_f64 v[2:3], v[108:109], s[12:13], v[2:3]
	v_fma_f64 v[85:86], v[108:109], s[2:3], v[85:86]
	s_delay_alu instid0(VALU_DEP_4) | instskip(NEXT) | instid1(VALU_DEP_4)
	v_fma_f64 v[0:1], v[4:5], s[14:15], v[0:1]
	v_fma_f64 v[4:5], v[4:5], s[14:15], v[80:81]
	v_add_f64_e32 v[80:81], v[74:75], v[60:61]
	v_fma_f64 v[2:3], v[6:7], s[14:15], v[2:3]
	v_fma_f64 v[6:7], v[6:7], s[14:15], v[85:86]
	v_add_f64_e32 v[85:86], v[76:77], v[62:63]
	s_delay_alu instid0(VALU_DEP_4) | instskip(SKIP_2) | instid1(VALU_DEP_4)
	v_fma_f64 v[80:81], v[80:81], -0.5, v[56:57]
	v_add_f64_e32 v[56:57], v[56:57], v[74:75]
	v_add_f64_e64 v[74:75], v[70:71], -v[74:75]
	v_fma_f64 v[85:86], v[85:86], -0.5, v[58:59]
	v_add_f64_e32 v[58:59], v[58:59], v[76:77]
	s_delay_alu instid0(VALU_DEP_4) | instskip(SKIP_1) | instid1(VALU_DEP_4)
	v_add_f64_e32 v[56:57], v[56:57], v[70:71]
	v_add_f64_e64 v[70:71], v[78:79], -v[76:77]
	v_fma_f64 v[76:77], v[108:109], s[0:1], v[85:86]
	s_delay_alu instid0(VALU_DEP_4)
	v_add_f64_e32 v[58:59], v[58:59], v[78:79]
	v_fma_f64 v[78:79], v[108:109], s[8:9], v[85:86]
	v_add_f64_e32 v[56:57], v[56:57], v[64:65]
	v_add_f64_e64 v[64:65], v[64:65], -v[60:61]
	v_add_f64_e64 v[108:109], v[89:90], -v[93:94]
	v_add_f64_e32 v[58:59], v[58:59], v[66:67]
	s_delay_alu instid0(VALU_DEP_4)
	v_add_f64_e32 v[56:57], v[56:57], v[60:61]
	v_add_f64_e64 v[60:61], v[66:67], -v[62:63]
	v_fma_f64 v[66:67], v[104:105], s[0:1], v[80:81]
	v_add_f64_e32 v[64:65], v[74:75], v[64:65]
	v_fma_f64 v[74:75], v[106:107], s[2:3], v[78:79]
	v_add_f64_e32 v[78:79], v[82:83], v[91:92]
	v_add_f64_e32 v[58:59], v[58:59], v[62:63]
	v_fma_f64 v[62:63], v[104:105], s[8:9], v[80:81]
	v_add_f64_e32 v[70:71], v[70:71], v[60:61]
	v_fma_f64 v[66:67], v[87:88], s[12:13], v[66:67]
	s_delay_alu instid0(VALU_DEP_3) | instskip(SKIP_3) | instid1(VALU_DEP_4)
	v_fma_f64 v[60:61], v[87:88], s[2:3], v[62:63]
	v_fma_f64 v[62:63], v[106:107], s[12:13], v[76:77]
	v_add_f64_e64 v[76:77], v[97:98], -v[93:94]
	v_add_f64_e64 v[106:107], v[68:69], -v[97:98]
	v_fma_f64 v[60:61], v[64:65], s[14:15], v[60:61]
	s_delay_alu instid0(VALU_DEP_4) | instskip(SKIP_4) | instid1(VALU_DEP_1)
	v_fma_f64 v[62:63], v[70:71], s[14:15], v[62:63]
	v_fma_f64 v[64:65], v[64:65], s[14:15], v[66:67]
	;; [unrolled: 1-line block ×3, first 2 shown]
	v_add_f64_e64 v[70:71], v[72:73], -v[82:83]
	v_add_f64_e64 v[74:75], v[95:96], -v[91:92]
	v_add_f64_e32 v[70:71], v[70:71], v[74:75]
	v_add_f64_e64 v[74:75], v[68:69], -v[89:90]
	s_delay_alu instid0(VALU_DEP_1) | instskip(SKIP_4) | instid1(VALU_DEP_1)
	v_add_f64_e32 v[87:88], v[74:75], v[76:77]
	ds_load_b128 v[74:77], v156 offset:208
	s_wait_dscnt 0x0
	v_fma_f64 v[85:86], v[78:79], -0.5, v[74:75]
	v_add_f64_e32 v[78:79], v[89:90], v[93:94]
	v_fma_f64 v[104:105], v[78:79], -0.5, v[76:77]
	s_delay_alu instid0(VALU_DEP_3) | instskip(SKIP_1) | instid1(VALU_DEP_3)
	v_fma_f64 v[78:79], v[106:107], s[0:1], v[85:86]
	v_fma_f64 v[85:86], v[106:107], s[8:9], v[85:86]
	;; [unrolled: 1-line block ×3, first 2 shown]
	s_delay_alu instid0(VALU_DEP_3) | instskip(SKIP_1) | instid1(VALU_DEP_4)
	v_fma_f64 v[78:79], v[108:109], s[2:3], v[78:79]
	v_fma_f64 v[104:105], v[110:111], s[0:1], v[104:105]
	;; [unrolled: 1-line block ×3, first 2 shown]
	s_delay_alu instid0(VALU_DEP_4) | instskip(NEXT) | instid1(VALU_DEP_4)
	v_fma_f64 v[80:81], v[112:113], s[12:13], v[80:81]
	v_fma_f64 v[78:79], v[70:71], s[14:15], v[78:79]
	s_delay_alu instid0(VALU_DEP_4) | instskip(NEXT) | instid1(VALU_DEP_4)
	v_fma_f64 v[104:105], v[112:113], s[2:3], v[104:105]
	v_fma_f64 v[85:86], v[70:71], s[14:15], v[85:86]
	v_add_f64_e32 v[70:71], v[72:73], v[95:96]
	v_fma_f64 v[80:81], v[87:88], s[14:15], v[80:81]
	s_delay_alu instid0(VALU_DEP_4) | instskip(NEXT) | instid1(VALU_DEP_3)
	v_fma_f64 v[87:88], v[87:88], s[14:15], v[104:105]
	v_fma_f64 v[104:105], v[70:71], -0.5, v[74:75]
	v_add_f64_e32 v[70:71], v[68:69], v[97:98]
	v_add_f64_e32 v[74:75], v[74:75], v[72:73]
	v_add_f64_e64 v[72:73], v[82:83], -v[72:73]
	s_delay_alu instid0(VALU_DEP_3) | instskip(SKIP_2) | instid1(VALU_DEP_2)
	v_fma_f64 v[114:115], v[70:71], -0.5, v[76:77]
	v_add_f64_e32 v[70:71], v[76:77], v[68:69]
	v_add_f64_e64 v[76:77], v[89:90], -v[68:69]
	v_add_f64_e32 v[68:69], v[70:71], v[89:90]
	v_add_f64_e32 v[70:71], v[74:75], v[82:83]
	v_add_f64_e64 v[82:83], v[91:92], -v[95:96]
	v_fma_f64 v[89:90], v[108:109], s[8:9], v[104:105]
	s_delay_alu instid0(VALU_DEP_4) | instskip(NEXT) | instid1(VALU_DEP_4)
	v_add_f64_e32 v[74:75], v[68:69], v[93:94]
	v_add_f64_e32 v[70:71], v[70:71], v[91:92]
	v_fma_f64 v[91:92], v[108:109], s[0:1], v[104:105]
	v_add_f64_e32 v[82:83], v[72:73], v[82:83]
	v_fma_f64 v[72:73], v[106:107], s[2:3], v[89:90]
	v_add_f64_e32 v[104:105], v[40:41], v[52:53]
	v_add_f64_e32 v[68:69], v[70:71], v[95:96]
	;; [unrolled: 1-line block ×3, first 2 shown]
	v_add_f64_e64 v[74:75], v[93:94], -v[97:98]
	v_fma_f64 v[93:94], v[112:113], s[0:1], v[114:115]
	v_fma_f64 v[95:96], v[112:113], s[8:9], v[114:115]
	;; [unrolled: 1-line block ×4, first 2 shown]
	v_add_f64_e32 v[97:98], v[42:43], v[54:55]
	v_add_f64_e64 v[112:113], v[44:45], -v[48:49]
	v_add_f64_e64 v[114:115], v[40:41], -v[52:53]
	v_add_f64_e32 v[76:77], v[76:77], v[74:75]
	v_fma_f64 v[74:75], v[110:111], s[12:13], v[93:94]
	v_fma_f64 v[91:92], v[110:111], s[2:3], v[95:96]
	;; [unrolled: 1-line block ×3, first 2 shown]
	v_add_f64_e64 v[82:83], v[50:51], -v[54:55]
	v_add_f64_e64 v[93:94], v[48:49], -v[52:53]
	v_fma_f64 v[74:75], v[76:77], s[14:15], v[74:75]
	v_fma_f64 v[91:92], v[76:77], s[14:15], v[91:92]
	v_add_f64_e64 v[76:77], v[46:47], -v[42:43]
	s_delay_alu instid0(VALU_DEP_1) | instskip(SKIP_1) | instid1(VALU_DEP_1)
	v_add_f64_e32 v[76:77], v[76:77], v[82:83]
	v_add_f64_e64 v[82:83], v[44:45], -v[40:41]
	v_add_f64_e32 v[82:83], v[82:83], v[93:94]
	ds_load_b128 v[93:96], v156 offset:416
	s_wait_dscnt 0x0
	v_fma_f64 v[97:98], v[97:98], -0.5, v[93:94]
	v_fma_f64 v[108:109], v[104:105], -0.5, v[95:96]
	s_delay_alu instid0(VALU_DEP_2) | instskip(SKIP_1) | instid1(VALU_DEP_3)
	v_fma_f64 v[104:105], v[112:113], s[8:9], v[97:98]
	v_fma_f64 v[97:98], v[112:113], s[0:1], v[97:98]
	;; [unrolled: 1-line block ×4, first 2 shown]
	s_delay_alu instid0(VALU_DEP_4) | instskip(NEXT) | instid1(VALU_DEP_4)
	v_fma_f64 v[104:105], v[114:115], s[2:3], v[104:105]
	v_fma_f64 v[97:98], v[114:115], s[12:13], v[97:98]
	s_delay_alu instid0(VALU_DEP_4) | instskip(NEXT) | instid1(VALU_DEP_4)
	v_fma_f64 v[106:107], v[118:119], s[12:13], v[106:107]
	v_fma_f64 v[110:111], v[118:119], s[2:3], v[108:109]
	;; [unrolled: 3-line block ×3, first 2 shown]
	v_add_f64_e32 v[76:77], v[46:47], v[50:51]
	v_fma_f64 v[106:107], v[82:83], s[14:15], v[106:107]
	v_fma_f64 v[110:111], v[82:83], s[14:15], v[110:111]
	v_add_f64_e32 v[82:83], v[44:45], v[48:49]
	s_delay_alu instid0(VALU_DEP_4) | instskip(SKIP_2) | instid1(VALU_DEP_4)
	v_fma_f64 v[76:77], v[76:77], -0.5, v[93:94]
	v_add_f64_e32 v[93:94], v[93:94], v[42:43]
	v_add_f64_e64 v[42:43], v[42:43], -v[46:47]
	v_fma_f64 v[82:83], v[82:83], -0.5, v[95:96]
	v_add_f64_e32 v[95:96], v[95:96], v[40:41]
	v_add_f64_e64 v[40:41], v[40:41], -v[44:45]
	v_fma_f64 v[97:98], v[114:115], s[0:1], v[76:77]
	v_add_f64_e32 v[46:47], v[93:94], v[46:47]
	v_fma_f64 v[76:77], v[114:115], s[8:9], v[76:77]
	v_add_f64_e32 v[93:94], v[95:96], v[44:45]
	v_add_f64_e64 v[44:45], v[52:53], -v[48:49]
	s_delay_alu instid0(VALU_DEP_4) | instskip(SKIP_1) | instid1(VALU_DEP_4)
	v_add_f64_e32 v[46:47], v[46:47], v[50:51]
	v_add_f64_e64 v[50:51], v[54:55], -v[50:51]
	v_add_f64_e32 v[95:96], v[93:94], v[48:49]
	v_fma_f64 v[48:49], v[118:119], s[0:1], v[82:83]
	s_delay_alu instid0(VALU_DEP_4)
	v_add_f64_e32 v[93:94], v[46:47], v[54:55]
	v_fma_f64 v[46:47], v[118:119], s[8:9], v[82:83]
	v_add_f64_e32 v[50:51], v[42:43], v[50:51]
	v_fma_f64 v[42:43], v[112:113], s[2:3], v[97:98]
	v_add_f64_e32 v[54:55], v[40:41], v[44:45]
	v_add_f64_e32 v[95:96], v[95:96], v[52:53]
	v_fma_f64 v[52:53], v[112:113], s[12:13], v[76:77]
	v_fma_f64 v[44:45], v[116:117], s[12:13], v[46:47]
	;; [unrolled: 1-line block ×4, first 2 shown]
	s_delay_alu instid0(VALU_DEP_3) | instskip(SKIP_1) | instid1(VALU_DEP_4)
	v_fma_f64 v[42:43], v[54:55], s[14:15], v[44:45]
	v_fma_f64 v[44:45], v[50:51], s[14:15], v[52:53]
	v_fma_f64 v[46:47], v[54:55], s[14:15], v[46:47]
	ds_load_b128 v[48:51], v156 offset:832
	ds_load_b128 v[52:55], v156 offset:624
	global_wb scope:SCOPE_SE
	s_wait_dscnt 0x0
	s_barrier_signal -1
	s_barrier_wait -1
	global_inv scope:SCOPE_SE
	ds_store_b128 v156, v[56:59]
	ds_store_b128 v156, v[0:3] offset:208
	ds_store_b128 v156, v[60:63] offset:416
	;; [unrolled: 1-line block ×14, first 2 shown]
	v_add_f64_e64 v[0:1], v[26:27], -v[22:23]
	v_add_f64_e64 v[2:3], v[30:31], -v[34:35]
	;; [unrolled: 1-line block ×6, first 2 shown]
	v_add_f64_e32 v[4:5], v[0:1], v[2:3]
	v_add_f64_e64 v[0:1], v[24:25], -v[20:21]
	v_add_f64_e64 v[2:3], v[28:29], -v[32:33]
	s_delay_alu instid0(VALU_DEP_1) | instskip(SKIP_1) | instid1(VALU_DEP_1)
	v_add_f64_e32 v[6:7], v[0:1], v[2:3]
	v_add_f64_e32 v[0:1], v[22:23], v[34:35]
	v_fma_f64 v[40:41], v[0:1], -0.5, v[52:53]
	v_add_f64_e32 v[0:1], v[20:21], v[32:33]
	s_delay_alu instid0(VALU_DEP_1) | instskip(NEXT) | instid1(VALU_DEP_3)
	v_fma_f64 v[42:43], v[0:1], -0.5, v[54:55]
	v_fma_f64 v[0:1], v[44:45], s[8:9], v[40:41]
	v_fma_f64 v[40:41], v[44:45], s[0:1], v[40:41]
	s_delay_alu instid0(VALU_DEP_3) | instskip(SKIP_1) | instid1(VALU_DEP_4)
	v_fma_f64 v[2:3], v[56:57], s[0:1], v[42:43]
	v_fma_f64 v[42:43], v[56:57], s[8:9], v[42:43]
	;; [unrolled: 1-line block ×3, first 2 shown]
	s_delay_alu instid0(VALU_DEP_4) | instskip(NEXT) | instid1(VALU_DEP_4)
	v_fma_f64 v[40:41], v[46:47], s[12:13], v[40:41]
	v_fma_f64 v[2:3], v[58:59], s[12:13], v[2:3]
	s_delay_alu instid0(VALU_DEP_4) | instskip(NEXT) | instid1(VALU_DEP_4)
	v_fma_f64 v[42:43], v[58:59], s[2:3], v[42:43]
	v_fma_f64 v[0:1], v[4:5], s[14:15], v[0:1]
	s_delay_alu instid0(VALU_DEP_4) | instskip(SKIP_4) | instid1(VALU_DEP_4)
	v_fma_f64 v[4:5], v[4:5], s[14:15], v[40:41]
	v_add_f64_e32 v[40:41], v[26:27], v[30:31]
	v_fma_f64 v[2:3], v[6:7], s[14:15], v[2:3]
	v_fma_f64 v[6:7], v[6:7], s[14:15], v[42:43]
	v_add_f64_e32 v[42:43], v[24:25], v[28:29]
	v_fma_f64 v[40:41], v[40:41], -0.5, v[52:53]
	s_delay_alu instid0(VALU_DEP_2)
	v_fma_f64 v[60:61], v[42:43], -0.5, v[54:55]
	v_add_f64_e32 v[42:43], v[52:53], v[22:23]
	v_add_f64_e32 v[52:53], v[54:55], v[20:21]
	v_add_f64_e64 v[22:23], v[22:23], -v[26:27]
	v_fma_f64 v[54:55], v[46:47], s[0:1], v[40:41]
	v_fma_f64 v[46:47], v[46:47], s[8:9], v[40:41]
	v_add_f64_e64 v[20:21], v[20:21], -v[24:25]
	v_add_f64_e32 v[26:27], v[42:43], v[26:27]
	v_add_f64_e32 v[40:41], v[52:53], v[24:25]
	v_add_f64_e64 v[24:25], v[32:33], -v[28:29]
	s_delay_alu instid0(VALU_DEP_3) | instskip(NEXT) | instid1(VALU_DEP_3)
	v_add_f64_e32 v[26:27], v[26:27], v[30:31]
	v_add_f64_e32 v[42:43], v[40:41], v[28:29]
	v_fma_f64 v[28:29], v[58:59], s[0:1], v[60:61]
	v_add_f64_e64 v[30:31], v[34:35], -v[30:31]
	s_delay_alu instid0(VALU_DEP_4) | instskip(SKIP_2) | instid1(VALU_DEP_4)
	v_add_f64_e32 v[40:41], v[26:27], v[34:35]
	v_fma_f64 v[26:27], v[58:59], s[8:9], v[60:61]
	v_add_f64_e32 v[34:35], v[20:21], v[24:25]
	v_add_f64_e32 v[30:31], v[22:23], v[30:31]
	v_fma_f64 v[22:23], v[44:45], s[2:3], v[54:55]
	v_add_f64_e32 v[42:43], v[42:43], v[32:33]
	v_fma_f64 v[32:33], v[44:45], s[12:13], v[46:47]
	v_fma_f64 v[24:25], v[56:57], s[12:13], v[26:27]
	;; [unrolled: 1-line block ×3, first 2 shown]
	scratch_load_b32 v28, off, off offset:392 th:TH_LOAD_LU ; 4-byte Folded Reload
	v_fma_f64 v[20:21], v[30:31], s[14:15], v[22:23]
	v_fma_f64 v[22:23], v[34:35], s[14:15], v[24:25]
	v_fma_f64 v[24:25], v[30:31], s[14:15], v[32:33]
	v_fma_f64 v[26:27], v[34:35], s[14:15], v[26:27]
	v_add_f64_e64 v[30:31], v[10:11], -v[38:39]
	v_add_f64_e32 v[32:33], v[48:49], v[10:11]
	v_add_f64_e32 v[34:35], v[50:51], v[8:9]
	s_wait_loadcnt 0x0
	ds_store_b128 v28, v[40:43] offset:3120
	ds_store_b128 v28, v[20:23] offset:3328
	;; [unrolled: 1-line block ×5, first 2 shown]
	v_add_f64_e64 v[0:1], v[16:17], -v[10:11]
	v_add_f64_e64 v[2:3], v[18:19], -v[38:39]
	;; [unrolled: 1-line block ×5, first 2 shown]
	s_delay_alu instid0(VALU_DEP_4) | instskip(SKIP_2) | instid1(VALU_DEP_1)
	v_add_f64_e32 v[4:5], v[0:1], v[2:3]
	v_add_f64_e64 v[0:1], v[12:13], -v[8:9]
	v_add_f64_e64 v[2:3], v[14:15], -v[36:37]
	v_add_f64_e32 v[6:7], v[0:1], v[2:3]
	v_add_f64_e32 v[0:1], v[10:11], v[38:39]
	v_add_f64_e64 v[10:11], v[10:11], -v[16:17]
	s_delay_alu instid0(VALU_DEP_2) | instskip(SKIP_2) | instid1(VALU_DEP_2)
	v_fma_f64 v[20:21], v[0:1], -0.5, v[48:49]
	v_add_f64_e32 v[0:1], v[8:9], v[36:37]
	v_add_f64_e64 v[8:9], v[8:9], -v[12:13]
	v_fma_f64 v[22:23], v[0:1], -0.5, v[50:51]
	s_delay_alu instid0(VALU_DEP_4) | instskip(SKIP_1) | instid1(VALU_DEP_3)
	v_fma_f64 v[0:1], v[24:25], s[8:9], v[20:21]
	v_fma_f64 v[20:21], v[24:25], s[0:1], v[20:21]
	v_fma_f64 v[2:3], v[28:29], s[0:1], v[22:23]
	v_fma_f64 v[22:23], v[28:29], s[8:9], v[22:23]
	s_delay_alu instid0(VALU_DEP_4) | instskip(NEXT) | instid1(VALU_DEP_4)
	v_fma_f64 v[0:1], v[26:27], s[2:3], v[0:1]
	v_fma_f64 v[20:21], v[26:27], s[12:13], v[20:21]
	s_delay_alu instid0(VALU_DEP_4) | instskip(NEXT) | instid1(VALU_DEP_4)
	v_fma_f64 v[2:3], v[30:31], s[12:13], v[2:3]
	v_fma_f64 v[22:23], v[30:31], s[2:3], v[22:23]
	s_delay_alu instid0(VALU_DEP_4) | instskip(NEXT) | instid1(VALU_DEP_4)
	v_fma_f64 v[0:1], v[4:5], s[14:15], v[0:1]
	v_fma_f64 v[4:5], v[4:5], s[14:15], v[20:21]
	v_add_f64_e32 v[20:21], v[16:17], v[18:19]
	v_add_f64_e32 v[16:17], v[32:33], v[16:17]
	;; [unrolled: 1-line block ×3, first 2 shown]
	v_add_f64_e64 v[34:35], v[38:39], -v[18:19]
	v_fma_f64 v[2:3], v[6:7], s[14:15], v[2:3]
	v_fma_f64 v[6:7], v[6:7], s[14:15], v[22:23]
	v_add_f64_e32 v[22:23], v[12:13], v[14:15]
	v_fma_f64 v[20:21], v[20:21], -0.5, v[48:49]
	v_add_f64_e32 v[16:17], v[16:17], v[18:19]
	v_add_f64_e32 v[32:33], v[32:33], v[14:15]
	v_add_f64_e64 v[14:15], v[36:37], -v[14:15]
	v_fma_f64 v[22:23], v[22:23], -0.5, v[50:51]
	v_fma_f64 v[12:13], v[26:27], s[0:1], v[20:21]
	v_fma_f64 v[20:21], v[26:27], s[8:9], v[20:21]
	v_add_f64_e32 v[16:17], v[16:17], v[38:39]
	v_add_f64_e32 v[14:15], v[8:9], v[14:15]
	;; [unrolled: 1-line block ×3, first 2 shown]
	v_fma_f64 v[26:27], v[30:31], s[8:9], v[22:23]
	v_fma_f64 v[22:23], v[30:31], s[0:1], v[22:23]
	v_add_f64_e32 v[30:31], v[10:11], v[34:35]
	v_fma_f64 v[10:11], v[24:25], s[2:3], v[12:13]
	v_fma_f64 v[12:13], v[24:25], s[12:13], v[20:21]
	;; [unrolled: 1-line block ×4, first 2 shown]
	s_delay_alu instid0(VALU_DEP_4) | instskip(NEXT) | instid1(VALU_DEP_4)
	v_fma_f64 v[8:9], v[30:31], s[14:15], v[10:11]
	v_fma_f64 v[12:13], v[30:31], s[14:15], v[12:13]
	s_delay_alu instid0(VALU_DEP_4)
	v_fma_f64 v[10:11], v[14:15], s[14:15], v[20:21]
	scratch_load_b32 v20, off, off offset:260 th:TH_LOAD_LU ; 4-byte Folded Reload
	v_fma_f64 v[14:15], v[14:15], s[14:15], v[22:23]
	s_wait_loadcnt 0x0
	ds_store_b128 v20, v[16:19] offset:4160
	ds_store_b128 v20, v[8:11] offset:4368
	;; [unrolled: 1-line block ×5, first 2 shown]
	global_wb scope:SCOPE_SE
	s_wait_dscnt 0x0
	s_barrier_signal -1
	s_barrier_wait -1
	global_inv scope:SCOPE_SE
	scratch_load_b128 v[16:19], off, off offset:264 th:TH_LOAD_LU ; 16-byte Folded Reload
	ds_load_b128 v[0:3], v156 offset:2080
	s_wait_dscnt 0x0
	v_mul_f64_e32 v[4:5], v[186:187], v[2:3]
	s_delay_alu instid0(VALU_DEP_1) | instskip(SKIP_1) | instid1(VALU_DEP_1)
	v_fma_f64 v[8:9], v[184:185], v[0:1], v[4:5]
	v_mul_f64_e32 v[0:1], v[186:187], v[0:1]
	v_fma_f64 v[12:13], v[184:185], v[2:3], -v[0:1]
	ds_load_b128 v[0:3], v156 offset:3120
	s_wait_dscnt 0x0
	v_mul_f64_e32 v[4:5], v[194:195], v[2:3]
	s_delay_alu instid0(VALU_DEP_1) | instskip(SKIP_1) | instid1(VALU_DEP_1)
	v_fma_f64 v[14:15], v[192:193], v[0:1], v[4:5]
	v_mul_f64_e32 v[0:1], v[194:195], v[0:1]
	v_fma_f64 v[10:11], v[192:193], v[2:3], -v[0:1]
	ds_load_b128 v[0:3], v156 offset:1040
	s_wait_loadcnt_dscnt 0x0
	v_mul_f64_e32 v[4:5], v[18:19], v[2:3]
	s_delay_alu instid0(VALU_DEP_1) | instskip(SKIP_1) | instid1(VALU_DEP_1)
	v_fma_f64 v[85:86], v[16:17], v[0:1], v[4:5]
	v_mul_f64_e32 v[0:1], v[18:19], v[0:1]
	v_fma_f64 v[87:88], v[16:17], v[2:3], -v[0:1]
	ds_load_b128 v[0:3], v156 offset:4160
	scratch_load_b128 v[16:19], off, off offset:412 th:TH_LOAD_LU ; 16-byte Folded Reload
	s_wait_dscnt 0x0
	v_mul_f64_e32 v[4:5], v[190:191], v[2:3]
	s_delay_alu instid0(VALU_DEP_1) | instskip(SKIP_1) | instid1(VALU_DEP_1)
	v_fma_f64 v[89:90], v[188:189], v[0:1], v[4:5]
	v_mul_f64_e32 v[0:1], v[190:191], v[0:1]
	v_fma_f64 v[91:92], v[188:189], v[2:3], -v[0:1]
	ds_load_b128 v[0:3], v156 offset:1248
	s_wait_dscnt 0x0
	v_mul_f64_e32 v[4:5], v[178:179], v[2:3]
	v_add_f64_e64 v[97:98], v[87:88], -v[91:92]
	s_delay_alu instid0(VALU_DEP_2) | instskip(SKIP_1) | instid1(VALU_DEP_1)
	v_fma_f64 v[30:31], v[176:177], v[0:1], v[4:5]
	v_mul_f64_e32 v[0:1], v[178:179], v[0:1]
	v_fma_f64 v[38:39], v[176:177], v[2:3], -v[0:1]
	ds_load_b128 v[0:3], v156 offset:2288
	s_wait_dscnt 0x0
	v_mul_f64_e32 v[4:5], v[174:175], v[2:3]
	s_delay_alu instid0(VALU_DEP_1) | instskip(SKIP_1) | instid1(VALU_DEP_1)
	v_fma_f64 v[44:45], v[172:173], v[0:1], v[4:5]
	v_mul_f64_e32 v[0:1], v[174:175], v[0:1]
	v_fma_f64 v[46:47], v[172:173], v[2:3], -v[0:1]
	ds_load_b128 v[0:3], v156 offset:3328
	s_wait_dscnt 0x0
	v_mul_f64_e32 v[4:5], v[170:171], v[2:3]
	s_delay_alu instid0(VALU_DEP_1) | instskip(SKIP_1) | instid1(VALU_DEP_2)
	v_fma_f64 v[48:49], v[168:169], v[0:1], v[4:5]
	v_mul_f64_e32 v[0:1], v[170:171], v[0:1]
	v_add_f64_e64 v[107:108], v[44:45], -v[48:49]
	s_delay_alu instid0(VALU_DEP_2) | instskip(SKIP_3) | instid1(VALU_DEP_1)
	v_fma_f64 v[50:51], v[168:169], v[2:3], -v[0:1]
	ds_load_b128 v[0:3], v156 offset:4368
	s_wait_dscnt 0x0
	v_mul_f64_e32 v[4:5], v[166:167], v[2:3]
	v_fma_f64 v[52:53], v[164:165], v[0:1], v[4:5]
	v_mul_f64_e32 v[0:1], v[166:167], v[0:1]
	s_delay_alu instid0(VALU_DEP_2) | instskip(NEXT) | instid1(VALU_DEP_2)
	v_add_f64_e64 v[105:106], v[30:31], -v[52:53]
	v_fma_f64 v[54:55], v[164:165], v[2:3], -v[0:1]
	ds_load_b128 v[0:3], v156 offset:1456
	s_wait_dscnt 0x0
	v_mul_f64_e32 v[4:5], v[182:183], v[2:3]
	s_delay_alu instid0(VALU_DEP_1) | instskip(SKIP_1) | instid1(VALU_DEP_1)
	v_fma_f64 v[26:27], v[180:181], v[0:1], v[4:5]
	v_mul_f64_e32 v[0:1], v[182:183], v[0:1]
	v_fma_f64 v[24:25], v[180:181], v[2:3], -v[0:1]
	ds_load_b128 v[0:3], v156 offset:2496
	s_wait_dscnt 0x0
	v_mul_f64_e32 v[4:5], v[154:155], v[2:3]
	s_delay_alu instid0(VALU_DEP_1) | instskip(SKIP_1) | instid1(VALU_DEP_1)
	v_fma_f64 v[28:29], v[152:153], v[0:1], v[4:5]
	v_mul_f64_e32 v[0:1], v[154:155], v[0:1]
	v_fma_f64 v[32:33], v[152:153], v[2:3], -v[0:1]
	ds_load_b128 v[0:3], v156 offset:3536
	s_wait_dscnt 0x0
	v_mul_f64_e32 v[4:5], v[150:151], v[2:3]
	s_delay_alu instid0(VALU_DEP_1) | instskip(SKIP_1) | instid1(VALU_DEP_2)
	v_fma_f64 v[36:37], v[148:149], v[0:1], v[4:5]
	v_mul_f64_e32 v[0:1], v[150:151], v[0:1]
	v_add_f64_e64 v[111:112], v[28:29], -v[36:37]
	s_delay_alu instid0(VALU_DEP_2) | instskip(SKIP_3) | instid1(VALU_DEP_1)
	v_fma_f64 v[34:35], v[148:149], v[2:3], -v[0:1]
	ds_load_b128 v[0:3], v156 offset:4576
	s_wait_dscnt 0x0
	v_mul_f64_e32 v[4:5], v[102:103], v[2:3]
	v_fma_f64 v[40:41], v[100:101], v[0:1], v[4:5]
	v_mul_f64_e32 v[0:1], v[102:103], v[0:1]
	v_add_f64_e64 v[103:104], v[8:9], -v[14:15]
	s_delay_alu instid0(VALU_DEP_2)
	v_fma_f64 v[42:43], v[100:101], v[2:3], -v[0:1]
	ds_load_b128 v[0:3], v156 offset:1664
	v_add_f64_e64 v[101:102], v[85:86], -v[89:90]
	v_add_f64_e64 v[99:100], v[12:13], -v[10:11]
	s_wait_dscnt 0x0
	v_mul_f64_e32 v[4:5], v[162:163], v[2:3]
	s_delay_alu instid0(VALU_DEP_1) | instskip(SKIP_1) | instid1(VALU_DEP_1)
	v_fma_f64 v[22:23], v[160:161], v[0:1], v[4:5]
	v_mul_f64_e32 v[0:1], v[162:163], v[0:1]
	v_fma_f64 v[20:21], v[160:161], v[2:3], -v[0:1]
	ds_load_b128 v[0:3], v156 offset:2704
	s_wait_loadcnt_dscnt 0x0
	v_mul_f64_e32 v[4:5], v[18:19], v[2:3]
	s_delay_alu instid0(VALU_DEP_1) | instskip(SKIP_1) | instid1(VALU_DEP_1)
	v_fma_f64 v[60:61], v[16:17], v[0:1], v[4:5]
	v_mul_f64_e32 v[0:1], v[18:19], v[0:1]
	v_fma_f64 v[56:57], v[16:17], v[2:3], -v[0:1]
	scratch_load_b128 v[16:19], off, off offset:360 th:TH_LOAD_LU ; 16-byte Folded Reload
	ds_load_b128 v[0:3], v156 offset:3744
	s_wait_loadcnt_dscnt 0x0
	v_mul_f64_e32 v[4:5], v[18:19], v[2:3]
	s_delay_alu instid0(VALU_DEP_1) | instskip(SKIP_1) | instid1(VALU_DEP_2)
	v_fma_f64 v[58:59], v[16:17], v[0:1], v[4:5]
	v_mul_f64_e32 v[0:1], v[18:19], v[0:1]
	v_add_f64_e64 v[115:116], v[60:61], -v[58:59]
	s_delay_alu instid0(VALU_DEP_2) | instskip(SKIP_4) | instid1(VALU_DEP_1)
	v_fma_f64 v[62:63], v[16:17], v[2:3], -v[0:1]
	scratch_load_b128 v[16:19], off, off offset:344 th:TH_LOAD_LU ; 16-byte Folded Reload
	ds_load_b128 v[0:3], v156 offset:4784
	s_wait_loadcnt_dscnt 0x0
	v_mul_f64_e32 v[4:5], v[18:19], v[2:3]
	v_fma_f64 v[80:81], v[16:17], v[0:1], v[4:5]
	v_mul_f64_e32 v[0:1], v[18:19], v[0:1]
	s_delay_alu instid0(VALU_DEP_1) | instskip(SKIP_4) | instid1(VALU_DEP_1)
	v_fma_f64 v[82:83], v[16:17], v[2:3], -v[0:1]
	scratch_load_b128 v[16:19], off, off offset:312 th:TH_LOAD_LU ; 16-byte Folded Reload
	ds_load_b128 v[0:3], v156 offset:1872
	s_wait_loadcnt_dscnt 0x0
	v_mul_f64_e32 v[4:5], v[18:19], v[2:3]
	v_fma_f64 v[66:67], v[16:17], v[0:1], v[4:5]
	v_mul_f64_e32 v[0:1], v[18:19], v[0:1]
	s_delay_alu instid0(VALU_DEP_1) | instskip(SKIP_4) | instid1(VALU_DEP_1)
	;; [unrolled: 8-line block ×4, first 2 shown]
	v_fma_f64 v[70:71], v[16:17], v[2:3], -v[0:1]
	scratch_load_b128 v[16:19], off, off offset:280 th:TH_LOAD_LU ; 16-byte Folded Reload
	ds_load_b128 v[0:3], v156 offset:4992
	s_wait_loadcnt_dscnt 0x0
	v_mul_f64_e32 v[4:5], v[18:19], v[2:3]
	v_fma_f64 v[76:77], v[16:17], v[0:1], v[4:5]
	v_mul_f64_e32 v[0:1], v[18:19], v[0:1]
	v_add_f64_e64 v[4:5], v[91:92], -v[10:11]
	s_delay_alu instid0(VALU_DEP_3) | instskip(NEXT) | instid1(VALU_DEP_3)
	v_add_f64_e64 v[119:120], v[66:67], -v[76:77]
	v_fma_f64 v[78:79], v[16:17], v[2:3], -v[0:1]
	v_add_f64_e64 v[0:1], v[85:86], -v[8:9]
	v_add_f64_e64 v[2:3], v[89:90], -v[14:15]
	ds_load_b128 v[16:19], v156
	v_add_f64_e32 v[0:1], v[0:1], v[2:3]
	v_add_f64_e64 v[2:3], v[87:88], -v[12:13]
	s_delay_alu instid0(VALU_DEP_1) | instskip(SKIP_2) | instid1(VALU_DEP_1)
	v_add_f64_e32 v[2:3], v[2:3], v[4:5]
	v_add_f64_e32 v[4:5], v[8:9], v[14:15]
	s_wait_dscnt 0x0
	v_fma_f64 v[93:94], v[4:5], -0.5, v[16:17]
	v_add_f64_e32 v[4:5], v[12:13], v[10:11]
	s_delay_alu instid0(VALU_DEP_1) | instskip(NEXT) | instid1(VALU_DEP_3)
	v_fma_f64 v[95:96], v[4:5], -0.5, v[18:19]
	v_fma_f64 v[4:5], v[97:98], s[0:1], v[93:94]
	v_fma_f64 v[93:94], v[97:98], s[8:9], v[93:94]
	s_delay_alu instid0(VALU_DEP_3) | instskip(SKIP_1) | instid1(VALU_DEP_4)
	v_fma_f64 v[6:7], v[101:102], s[8:9], v[95:96]
	v_fma_f64 v[95:96], v[101:102], s[0:1], v[95:96]
	;; [unrolled: 1-line block ×3, first 2 shown]
	s_delay_alu instid0(VALU_DEP_4) | instskip(NEXT) | instid1(VALU_DEP_4)
	v_fma_f64 v[93:94], v[99:100], s[12:13], v[93:94]
	v_fma_f64 v[6:7], v[103:104], s[12:13], v[6:7]
	s_delay_alu instid0(VALU_DEP_4) | instskip(NEXT) | instid1(VALU_DEP_4)
	v_fma_f64 v[95:96], v[103:104], s[2:3], v[95:96]
	v_fma_f64 v[4:5], v[0:1], s[14:15], v[4:5]
	s_delay_alu instid0(VALU_DEP_4) | instskip(SKIP_4) | instid1(VALU_DEP_4)
	v_fma_f64 v[0:1], v[0:1], s[14:15], v[93:94]
	v_add_f64_e32 v[93:94], v[85:86], v[89:90]
	v_fma_f64 v[6:7], v[2:3], s[14:15], v[6:7]
	v_fma_f64 v[2:3], v[2:3], s[14:15], v[95:96]
	v_add_f64_e32 v[95:96], v[87:88], v[91:92]
	v_fma_f64 v[93:94], v[93:94], -0.5, v[16:17]
	v_add_f64_e32 v[16:17], v[16:17], v[85:86]
	s_delay_alu instid0(VALU_DEP_3) | instskip(SKIP_1) | instid1(VALU_DEP_3)
	v_fma_f64 v[95:96], v[95:96], -0.5, v[18:19]
	v_add_f64_e32 v[18:19], v[18:19], v[87:88]
	v_add_f64_e32 v[16:17], v[16:17], v[8:9]
	v_add_f64_e64 v[8:9], v[8:9], -v[85:86]
	v_fma_f64 v[85:86], v[99:100], s[8:9], v[93:94]
	v_fma_f64 v[93:94], v[99:100], s[0:1], v[93:94]
	v_add_f64_e32 v[18:19], v[18:19], v[12:13]
	v_add_f64_e64 v[12:13], v[12:13], -v[87:88]
	v_add_f64_e32 v[16:17], v[16:17], v[14:15]
	v_add_f64_e64 v[14:15], v[14:15], -v[89:90]
	v_fma_f64 v[87:88], v[103:104], s[0:1], v[95:96]
	v_add_f64_e32 v[18:19], v[18:19], v[10:11]
	v_add_f64_e64 v[10:11], v[10:11], -v[91:92]
	v_add_f64_e32 v[16:17], v[16:17], v[89:90]
	v_add_f64_e32 v[8:9], v[8:9], v[14:15]
	v_fma_f64 v[14:15], v[97:98], s[2:3], v[85:86]
	v_fma_f64 v[85:86], v[97:98], s[12:13], v[93:94]
	;; [unrolled: 1-line block ×4, first 2 shown]
	v_add_f64_e64 v[103:104], v[46:47], -v[50:51]
	v_add_f64_e32 v[18:19], v[18:19], v[91:92]
	v_add_f64_e32 v[10:11], v[12:13], v[10:11]
	v_fma_f64 v[12:13], v[8:9], s[14:15], v[14:15]
	v_fma_f64 v[8:9], v[8:9], s[14:15], v[85:86]
	v_add_f64_e64 v[85:86], v[30:31], -v[44:45]
	v_fma_f64 v[89:90], v[101:102], s[2:3], v[89:90]
	v_add_f64_e64 v[101:102], v[38:39], -v[54:55]
	v_fma_f64 v[14:15], v[10:11], s[14:15], v[87:88]
	v_add_f64_e64 v[87:88], v[52:53], -v[48:49]
	s_delay_alu instid0(VALU_DEP_4) | instskip(SKIP_1) | instid1(VALU_DEP_3)
	v_fma_f64 v[10:11], v[10:11], s[14:15], v[89:90]
	v_add_f64_e32 v[89:90], v[44:45], v[48:49]
	v_add_f64_e32 v[93:94], v[85:86], v[87:88]
	v_add_f64_e64 v[85:86], v[38:39], -v[46:47]
	v_add_f64_e64 v[87:88], v[54:55], -v[50:51]
	s_delay_alu instid0(VALU_DEP_1) | instskip(SKIP_4) | instid1(VALU_DEP_1)
	v_add_f64_e32 v[95:96], v[85:86], v[87:88]
	ds_load_b128 v[85:88], v156 offset:208
	s_wait_dscnt 0x0
	v_fma_f64 v[97:98], v[89:90], -0.5, v[85:86]
	v_add_f64_e32 v[89:90], v[46:47], v[50:51]
	v_fma_f64 v[99:100], v[89:90], -0.5, v[87:88]
	s_delay_alu instid0(VALU_DEP_3) | instskip(SKIP_1) | instid1(VALU_DEP_3)
	v_fma_f64 v[89:90], v[101:102], s[0:1], v[97:98]
	v_fma_f64 v[97:98], v[101:102], s[8:9], v[97:98]
	;; [unrolled: 1-line block ×4, first 2 shown]
	s_delay_alu instid0(VALU_DEP_4) | instskip(NEXT) | instid1(VALU_DEP_4)
	v_fma_f64 v[89:90], v[103:104], s[2:3], v[89:90]
	v_fma_f64 v[97:98], v[103:104], s[12:13], v[97:98]
	s_delay_alu instid0(VALU_DEP_4) | instskip(NEXT) | instid1(VALU_DEP_4)
	v_fma_f64 v[91:92], v[107:108], s[12:13], v[91:92]
	v_fma_f64 v[99:100], v[107:108], s[2:3], v[99:100]
	;; [unrolled: 3-line block ×3, first 2 shown]
	v_add_f64_e32 v[97:98], v[30:31], v[52:53]
	v_fma_f64 v[91:92], v[95:96], s[14:15], v[91:92]
	v_fma_f64 v[95:96], v[95:96], s[14:15], v[99:100]
	v_add_f64_e32 v[99:100], v[38:39], v[54:55]
	s_delay_alu instid0(VALU_DEP_4) | instskip(SKIP_2) | instid1(VALU_DEP_4)
	v_fma_f64 v[97:98], v[97:98], -0.5, v[85:86]
	v_add_f64_e32 v[85:86], v[85:86], v[30:31]
	v_add_f64_e64 v[30:31], v[44:45], -v[30:31]
	v_fma_f64 v[99:100], v[99:100], -0.5, v[87:88]
	v_add_f64_e32 v[87:88], v[87:88], v[38:39]
	v_add_f64_e64 v[38:39], v[46:47], -v[38:39]
	v_add_f64_e32 v[85:86], v[85:86], v[44:45]
	v_fma_f64 v[109:110], v[103:104], s[8:9], v[97:98]
	v_fma_f64 v[97:98], v[103:104], s[0:1], v[97:98]
	v_add_f64_e32 v[44:45], v[87:88], v[46:47]
	s_delay_alu instid0(VALU_DEP_4) | instskip(SKIP_1) | instid1(VALU_DEP_3)
	v_add_f64_e32 v[46:47], v[85:86], v[48:49]
	v_add_f64_e64 v[48:49], v[48:49], -v[52:53]
	v_add_f64_e32 v[85:86], v[44:45], v[50:51]
	v_add_f64_e64 v[50:51], v[50:51], -v[54:55]
	s_delay_alu instid0(VALU_DEP_4)
	v_add_f64_e32 v[44:45], v[46:47], v[52:53]
	v_fma_f64 v[52:53], v[107:108], s[0:1], v[99:100]
	v_add_f64_e32 v[30:31], v[30:31], v[48:49]
	v_fma_f64 v[48:49], v[101:102], s[2:3], v[109:110]
	v_add_f64_e64 v[109:110], v[26:27], -v[40:41]
	v_add_f64_e32 v[46:47], v[85:86], v[54:55]
	v_fma_f64 v[54:55], v[107:108], s[8:9], v[99:100]
	v_fma_f64 v[85:86], v[101:102], s[12:13], v[97:98]
	v_add_f64_e32 v[38:39], v[38:39], v[50:51]
	v_fma_f64 v[50:51], v[105:106], s[12:13], v[52:53]
	v_fma_f64 v[48:49], v[30:31], s[14:15], v[48:49]
	v_add_f64_e32 v[97:98], v[28:29], v[36:37]
	v_add_f64_e64 v[107:108], v[32:33], -v[34:35]
	v_fma_f64 v[54:55], v[105:106], s[2:3], v[54:55]
	v_fma_f64 v[52:53], v[30:31], s[14:15], v[85:86]
	v_add_f64_e64 v[30:31], v[26:27], -v[28:29]
	v_fma_f64 v[50:51], v[38:39], s[14:15], v[50:51]
	v_add_f64_e64 v[85:86], v[42:43], -v[34:35]
	v_add_f64_e64 v[105:106], v[24:25], -v[42:43]
	v_fma_f64 v[54:55], v[38:39], s[14:15], v[54:55]
	v_add_f64_e64 v[38:39], v[40:41], -v[36:37]
	s_delay_alu instid0(VALU_DEP_1) | instskip(SKIP_1) | instid1(VALU_DEP_1)
	v_add_f64_e32 v[30:31], v[30:31], v[38:39]
	v_add_f64_e64 v[38:39], v[24:25], -v[32:33]
	v_add_f64_e32 v[38:39], v[38:39], v[85:86]
	ds_load_b128 v[85:88], v156 offset:416
	s_wait_dscnt 0x0
	v_fma_f64 v[101:102], v[97:98], -0.5, v[85:86]
	v_add_f64_e32 v[97:98], v[32:33], v[34:35]
	s_delay_alu instid0(VALU_DEP_1) | instskip(NEXT) | instid1(VALU_DEP_3)
	v_fma_f64 v[103:104], v[97:98], -0.5, v[87:88]
	v_fma_f64 v[97:98], v[105:106], s[0:1], v[101:102]
	v_fma_f64 v[101:102], v[105:106], s[8:9], v[101:102]
	s_delay_alu instid0(VALU_DEP_3) | instskip(NEXT) | instid1(VALU_DEP_3)
	v_fma_f64 v[99:100], v[109:110], s[8:9], v[103:104]
	v_fma_f64 v[97:98], v[107:108], s[2:3], v[97:98]
	;; [unrolled: 1-line block ×3, first 2 shown]
	s_delay_alu instid0(VALU_DEP_4) | instskip(NEXT) | instid1(VALU_DEP_4)
	v_fma_f64 v[101:102], v[107:108], s[12:13], v[101:102]
	v_fma_f64 v[99:100], v[111:112], s[12:13], v[99:100]
	s_delay_alu instid0(VALU_DEP_4) | instskip(NEXT) | instid1(VALU_DEP_4)
	v_fma_f64 v[97:98], v[30:31], s[14:15], v[97:98]
	v_fma_f64 v[103:104], v[111:112], s[2:3], v[103:104]
	s_delay_alu instid0(VALU_DEP_4) | instskip(SKIP_2) | instid1(VALU_DEP_4)
	v_fma_f64 v[101:102], v[30:31], s[14:15], v[101:102]
	v_add_f64_e32 v[30:31], v[26:27], v[40:41]
	v_fma_f64 v[99:100], v[38:39], s[14:15], v[99:100]
	v_fma_f64 v[103:104], v[38:39], s[14:15], v[103:104]
	v_add_f64_e32 v[38:39], v[24:25], v[42:43]
	s_delay_alu instid0(VALU_DEP_4) | instskip(SKIP_1) | instid1(VALU_DEP_3)
	v_fma_f64 v[30:31], v[30:31], -0.5, v[85:86]
	v_add_f64_e32 v[85:86], v[85:86], v[26:27]
	v_fma_f64 v[38:39], v[38:39], -0.5, v[87:88]
	v_add_f64_e32 v[87:88], v[87:88], v[24:25]
	s_delay_alu instid0(VALU_DEP_3)
	v_add_f64_e32 v[85:86], v[85:86], v[28:29]
	v_add_f64_e64 v[28:29], v[28:29], -v[26:27]
	v_fma_f64 v[113:114], v[107:108], s[8:9], v[30:31]
	v_fma_f64 v[30:31], v[107:108], s[0:1], v[30:31]
	v_add_f64_e32 v[26:27], v[87:88], v[32:33]
	v_add_f64_e64 v[32:33], v[32:33], -v[24:25]
	v_add_f64_e32 v[24:25], v[85:86], v[36:37]
	v_add_f64_e64 v[36:37], v[36:37], -v[40:41]
	s_delay_alu instid0(VALU_DEP_4) | instskip(SKIP_1) | instid1(VALU_DEP_4)
	v_add_f64_e32 v[26:27], v[26:27], v[34:35]
	v_add_f64_e64 v[34:35], v[34:35], -v[42:43]
	v_add_f64_e32 v[24:25], v[24:25], v[40:41]
	v_fma_f64 v[40:41], v[111:112], s[0:1], v[38:39]
	v_fma_f64 v[38:39], v[111:112], s[8:9], v[38:39]
	v_add_f64_e32 v[36:37], v[28:29], v[36:37]
	v_fma_f64 v[28:29], v[105:106], s[2:3], v[113:114]
	v_add_f64_e64 v[111:112], v[56:57], -v[62:63]
	v_add_f64_e64 v[113:114], v[22:23], -v[80:81]
	v_add_f64_e32 v[26:27], v[26:27], v[42:43]
	v_fma_f64 v[42:43], v[105:106], s[12:13], v[30:31]
	v_add_f64_e32 v[34:35], v[32:33], v[34:35]
	v_fma_f64 v[30:31], v[109:110], s[12:13], v[40:41]
	v_fma_f64 v[38:39], v[109:110], s[2:3], v[38:39]
	v_add_f64_e32 v[40:41], v[60:61], v[58:59]
	v_fma_f64 v[28:29], v[36:37], s[14:15], v[28:29]
	v_add_f64_e64 v[109:110], v[20:21], -v[82:83]
	v_fma_f64 v[32:33], v[36:37], s[14:15], v[42:43]
	v_add_f64_e64 v[36:37], v[22:23], -v[60:61]
	v_fma_f64 v[30:31], v[34:35], s[14:15], v[30:31]
	v_fma_f64 v[34:35], v[34:35], s[14:15], v[38:39]
	v_add_f64_e64 v[38:39], v[80:81], -v[58:59]
	s_delay_alu instid0(VALU_DEP_1) | instskip(SKIP_2) | instid1(VALU_DEP_1)
	v_add_f64_e32 v[85:86], v[36:37], v[38:39]
	v_add_f64_e64 v[36:37], v[20:21], -v[56:57]
	v_add_f64_e64 v[38:39], v[82:83], -v[62:63]
	v_add_f64_e32 v[87:88], v[36:37], v[38:39]
	ds_load_b128 v[36:39], v156 offset:624
	s_wait_dscnt 0x0
	v_fma_f64 v[105:106], v[40:41], -0.5, v[36:37]
	v_add_f64_e32 v[40:41], v[56:57], v[62:63]
	s_delay_alu instid0(VALU_DEP_1) | instskip(NEXT) | instid1(VALU_DEP_3)
	v_fma_f64 v[107:108], v[40:41], -0.5, v[38:39]
	v_fma_f64 v[40:41], v[109:110], s[0:1], v[105:106]
	v_fma_f64 v[105:106], v[109:110], s[8:9], v[105:106]
	s_delay_alu instid0(VALU_DEP_3) | instskip(NEXT) | instid1(VALU_DEP_3)
	v_fma_f64 v[42:43], v[113:114], s[8:9], v[107:108]
	v_fma_f64 v[40:41], v[111:112], s[2:3], v[40:41]
	;; [unrolled: 1-line block ×3, first 2 shown]
	s_delay_alu instid0(VALU_DEP_4) | instskip(NEXT) | instid1(VALU_DEP_4)
	v_fma_f64 v[105:106], v[111:112], s[12:13], v[105:106]
	v_fma_f64 v[42:43], v[115:116], s[12:13], v[42:43]
	s_delay_alu instid0(VALU_DEP_4) | instskip(NEXT) | instid1(VALU_DEP_4)
	v_fma_f64 v[40:41], v[85:86], s[14:15], v[40:41]
	v_fma_f64 v[107:108], v[115:116], s[2:3], v[107:108]
	s_delay_alu instid0(VALU_DEP_4) | instskip(SKIP_2) | instid1(VALU_DEP_4)
	v_fma_f64 v[85:86], v[85:86], s[14:15], v[105:106]
	v_add_f64_e32 v[105:106], v[22:23], v[80:81]
	v_fma_f64 v[42:43], v[87:88], s[14:15], v[42:43]
	v_fma_f64 v[87:88], v[87:88], s[14:15], v[107:108]
	v_add_f64_e32 v[107:108], v[20:21], v[82:83]
	s_delay_alu instid0(VALU_DEP_4) | instskip(SKIP_1) | instid1(VALU_DEP_3)
	v_fma_f64 v[105:106], v[105:106], -0.5, v[36:37]
	v_add_f64_e32 v[36:37], v[36:37], v[22:23]
	v_fma_f64 v[107:108], v[107:108], -0.5, v[38:39]
	v_add_f64_e32 v[38:39], v[38:39], v[20:21]
	s_delay_alu instid0(VALU_DEP_3)
	v_add_f64_e32 v[36:37], v[36:37], v[60:61]
	v_add_f64_e64 v[60:61], v[60:61], -v[22:23]
	v_fma_f64 v[117:118], v[111:112], s[8:9], v[105:106]
	v_fma_f64 v[105:106], v[111:112], s[0:1], v[105:106]
	v_add_f64_e32 v[22:23], v[38:39], v[56:57]
	v_add_f64_e64 v[38:39], v[56:57], -v[20:21]
	v_add_f64_e32 v[20:21], v[36:37], v[58:59]
	v_add_f64_e64 v[36:37], v[58:59], -v[80:81]
	v_add_f64_e64 v[56:57], v[62:63], -v[82:83]
	v_fma_f64 v[58:59], v[115:116], s[0:1], v[107:108]
	v_add_f64_e32 v[22:23], v[22:23], v[62:63]
	v_fma_f64 v[62:63], v[115:116], s[8:9], v[107:108]
	v_add_f64_e32 v[20:21], v[20:21], v[80:81]
	v_add_f64_e32 v[60:61], v[60:61], v[36:37]
	v_fma_f64 v[36:37], v[109:110], s[2:3], v[117:118]
	v_fma_f64 v[80:81], v[109:110], s[12:13], v[105:106]
	v_add_f64_e64 v[117:118], v[68:69], -v[74:75]
	v_add_f64_e64 v[115:116], v[64:65], -v[78:79]
	v_add_f64_e32 v[22:23], v[22:23], v[82:83]
	v_add_f64_e32 v[82:83], v[38:39], v[56:57]
	v_fma_f64 v[38:39], v[113:114], s[12:13], v[58:59]
	v_fma_f64 v[58:59], v[113:114], s[2:3], v[62:63]
	;; [unrolled: 1-line block ×4, first 2 shown]
	v_add_f64_e64 v[60:61], v[68:69], -v[66:67]
	v_add_f64_e64 v[62:63], v[74:75], -v[76:77]
	v_add_f64_e32 v[80:81], v[66:67], v[76:77]
	v_add_f64_e64 v[113:114], v[72:73], -v[70:71]
	v_fma_f64 v[38:39], v[82:83], s[14:15], v[38:39]
	v_fma_f64 v[58:59], v[82:83], s[14:15], v[58:59]
	v_add_f64_e32 v[105:106], v[60:61], v[62:63]
	v_add_f64_e64 v[60:61], v[72:73], -v[64:65]
	v_add_f64_e64 v[62:63], v[70:71], -v[78:79]
	s_delay_alu instid0(VALU_DEP_1) | instskip(SKIP_4) | instid1(VALU_DEP_1)
	v_add_f64_e32 v[107:108], v[60:61], v[62:63]
	ds_load_b128 v[60:63], v156 offset:832
	s_wait_dscnt 0x0
	v_fma_f64 v[109:110], v[80:81], -0.5, v[60:61]
	v_add_f64_e32 v[80:81], v[64:65], v[78:79]
	v_fma_f64 v[111:112], v[80:81], -0.5, v[62:63]
	s_delay_alu instid0(VALU_DEP_3) | instskip(SKIP_1) | instid1(VALU_DEP_3)
	v_fma_f64 v[80:81], v[113:114], s[8:9], v[109:110]
	v_fma_f64 v[109:110], v[113:114], s[0:1], v[109:110]
	;; [unrolled: 1-line block ×4, first 2 shown]
	s_delay_alu instid0(VALU_DEP_4) | instskip(NEXT) | instid1(VALU_DEP_4)
	v_fma_f64 v[80:81], v[115:116], s[2:3], v[80:81]
	v_fma_f64 v[109:110], v[115:116], s[12:13], v[109:110]
	s_delay_alu instid0(VALU_DEP_4) | instskip(NEXT) | instid1(VALU_DEP_4)
	v_fma_f64 v[82:83], v[119:120], s[12:13], v[82:83]
	v_fma_f64 v[111:112], v[119:120], s[2:3], v[111:112]
	;; [unrolled: 3-line block ×3, first 2 shown]
	v_add_f64_e32 v[109:110], v[68:69], v[74:75]
	v_fma_f64 v[82:83], v[107:108], s[14:15], v[82:83]
	v_fma_f64 v[107:108], v[107:108], s[14:15], v[111:112]
	v_add_f64_e32 v[111:112], v[72:73], v[70:71]
	s_delay_alu instid0(VALU_DEP_4) | instskip(SKIP_2) | instid1(VALU_DEP_4)
	v_fma_f64 v[109:110], v[109:110], -0.5, v[60:61]
	v_add_f64_e32 v[60:61], v[60:61], v[66:67]
	v_add_f64_e64 v[66:67], v[66:67], -v[68:69]
	v_fma_f64 v[111:112], v[111:112], -0.5, v[62:63]
	v_add_f64_e32 v[62:63], v[62:63], v[64:65]
	v_add_f64_e64 v[64:65], v[64:65], -v[72:73]
	v_add_f64_e32 v[60:61], v[60:61], v[68:69]
	v_fma_f64 v[68:69], v[115:116], s[0:1], v[109:110]
	v_fma_f64 v[109:110], v[115:116], s[8:9], v[109:110]
	v_add_f64_e32 v[62:63], v[62:63], v[72:73]
	v_add_f64_e64 v[72:73], v[76:77], -v[74:75]
	v_add_f64_e32 v[60:61], v[60:61], v[74:75]
	v_fma_f64 v[74:75], v[119:120], s[8:9], v[111:112]
	s_delay_alu instid0(VALU_DEP_4) | instskip(SKIP_1) | instid1(VALU_DEP_4)
	v_add_f64_e32 v[62:63], v[62:63], v[70:71]
	v_add_f64_e64 v[70:71], v[78:79], -v[70:71]
	v_add_f64_e32 v[60:61], v[60:61], v[76:77]
	v_fma_f64 v[76:77], v[119:120], s[0:1], v[111:112]
	v_add_f64_e32 v[72:73], v[66:67], v[72:73]
	v_fma_f64 v[66:67], v[113:114], s[2:3], v[68:69]
	v_fma_f64 v[74:75], v[117:118], s[12:13], v[74:75]
	;; [unrolled: 1-line block ×3, first 2 shown]
	v_add_f64_e32 v[62:63], v[62:63], v[78:79]
	v_add_f64_e32 v[70:71], v[64:65], v[70:71]
	v_fma_f64 v[76:77], v[117:118], s[2:3], v[76:77]
	s_mov_b32 s2, 0x7f9b2ce6
	v_fma_f64 v[64:65], v[72:73], s[14:15], v[66:67]
	s_mov_b32 s3, 0x3f6934c6
	v_fma_f64 v[68:69], v[72:73], s[14:15], v[68:69]
	s_delay_alu instid0(VALU_DEP_4) | instskip(NEXT) | instid1(VALU_DEP_4)
	v_fma_f64 v[66:67], v[70:71], s[14:15], v[74:75]
	v_fma_f64 v[70:71], v[70:71], s[14:15], v[76:77]
	ds_store_b128 v156, v[16:19]
	ds_store_b128 v157, v[4:7] offset:1040
	ds_store_b128 v157, v[89:92] offset:1248
	;; [unrolled: 1-line block ×24, first 2 shown]
	global_wb scope:SCOPE_SE
	s_wait_dscnt 0x0
	s_barrier_signal -1
	s_barrier_wait -1
	global_inv scope:SCOPE_SE
	s_clause 0x3
	scratch_load_b128 v[6:9], off, off offset:164 th:TH_LOAD_LU
	scratch_load_b128 v[10:13], off, off offset:180 th:TH_LOAD_LU
	;; [unrolled: 1-line block ×4, first 2 shown]
	ds_load_b128 v[0:3], v156
	s_clause 0x8
	scratch_load_b128 v[22:25], off, off offset:68 th:TH_LOAD_LU
	scratch_load_b128 v[26:29], off, off offset:84 th:TH_LOAD_LU
	;; [unrolled: 1-line block ×9, first 2 shown]
	s_wait_loadcnt_dscnt 0xc00
	v_mul_f64_e32 v[4:5], v[8:9], v[2:3]
	s_delay_alu instid0(VALU_DEP_1) | instskip(SKIP_1) | instid1(VALU_DEP_1)
	v_fma_f64 v[4:5], v[6:7], v[0:1], v[4:5]
	v_mul_f64_e32 v[0:1], v[8:9], v[0:1]
	v_fma_f64 v[6:7], v[6:7], v[2:3], -v[0:1]
	ds_load_b128 v[0:3], v156 offset:400
	s_wait_loadcnt_dscnt 0xb00
	v_mul_f64_e32 v[8:9], v[12:13], v[2:3]
	s_wait_alu 0xfffe
	v_mul_f64_e32 v[6:7], s[2:3], v[6:7]
	s_delay_alu instid0(VALU_DEP_2) | instskip(SKIP_1) | instid1(VALU_DEP_2)
	v_fma_f64 v[8:9], v[10:11], v[0:1], v[8:9]
	v_mul_f64_e32 v[0:1], v[12:13], v[0:1]
	v_mul_f64_e32 v[8:9], s[2:3], v[8:9]
	s_delay_alu instid0(VALU_DEP_2) | instskip(SKIP_4) | instid1(VALU_DEP_2)
	v_fma_f64 v[10:11], v[10:11], v[2:3], -v[0:1]
	ds_load_b128 v[0:3], v156 offset:800
	s_wait_loadcnt_dscnt 0xa00
	v_mul_f64_e32 v[12:13], v[16:17], v[2:3]
	v_mul_f64_e32 v[10:11], s[2:3], v[10:11]
	v_fma_f64 v[12:13], v[14:15], v[0:1], v[12:13]
	v_mul_f64_e32 v[0:1], v[16:17], v[0:1]
	s_delay_alu instid0(VALU_DEP_1) | instskip(SKIP_3) | instid1(VALU_DEP_1)
	v_fma_f64 v[14:15], v[14:15], v[2:3], -v[0:1]
	ds_load_b128 v[0:3], v156 offset:1200
	s_wait_loadcnt_dscnt 0x900
	v_mul_f64_e32 v[16:17], v[20:21], v[2:3]
	v_fma_f64 v[16:17], v[18:19], v[0:1], v[16:17]
	v_mul_f64_e32 v[0:1], v[20:21], v[0:1]
	s_delay_alu instid0(VALU_DEP_1) | instskip(SKIP_3) | instid1(VALU_DEP_1)
	v_fma_f64 v[18:19], v[18:19], v[2:3], -v[0:1]
	ds_load_b128 v[0:3], v156 offset:1600
	s_wait_loadcnt_dscnt 0x800
	;; [unrolled: 7-line block ×9, first 2 shown]
	v_mul_f64_e32 v[48:49], v[52:53], v[2:3]
	v_fma_f64 v[48:49], v[50:51], v[0:1], v[48:49]
	v_mul_f64_e32 v[0:1], v[52:53], v[0:1]
	scratch_load_b32 v53, off, off th:TH_LOAD_LU ; 4-byte Folded Reload
	v_fma_f64 v[0:1], v[50:51], v[2:3], -v[0:1]
	scratch_load_b64 v[2:3], off, off offset:28 th:TH_LOAD_LU ; 8-byte Folded Reload
	s_wait_loadcnt 0x0
	v_mov_b32_e32 v50, v2
	s_delay_alu instid0(VALU_DEP_1) | instskip(NEXT) | instid1(VALU_DEP_1)
	v_mad_co_u64_u32 v[2:3], null, s6, v50, 0
	v_mad_co_u64_u32 v[50:51], null, s7, v50, v[3:4]
	v_mul_f64_e32 v[4:5], s[2:3], v[4:5]
	v_mad_co_u64_u32 v[51:52], null, s4, v53, 0
	s_delay_alu instid0(VALU_DEP_1) | instskip(NEXT) | instid1(VALU_DEP_1)
	v_dual_mov_b32 v3, v50 :: v_dual_mov_b32 v50, v52
	v_lshlrev_b64_e32 v[2:3], 4, v[2:3]
	s_delay_alu instid0(VALU_DEP_2) | instskip(NEXT) | instid1(VALU_DEP_2)
	v_mad_co_u64_u32 v[52:53], null, s5, v53, v[50:51]
	v_add_co_u32 v2, s0, s10, v2
	s_wait_alu 0xf1ff
	s_delay_alu instid0(VALU_DEP_3) | instskip(NEXT) | instid1(VALU_DEP_3)
	v_add_co_ci_u32_e64 v3, s0, s11, v3, s0
	v_lshlrev_b64_e32 v[50:51], 4, v[51:52]
	s_delay_alu instid0(VALU_DEP_1) | instskip(SKIP_1) | instid1(VALU_DEP_2)
	v_add_co_u32 v50, s0, v2, v50
	s_wait_alu 0xf1ff
	v_add_co_ci_u32_e64 v51, s0, v3, v51, s0
	s_mul_u64 s[0:1], s[4:5], 25
	s_wait_alu 0xfffe
	s_lshl_b64 s[6:7], s[0:1], 4
	global_store_b128 v[50:51], v[4:7], off
	ds_load_b128 v[4:7], v156 offset:4800
	s_wait_alu 0xfffe
	v_add_co_u32 v50, s0, v50, s6
	s_wait_alu 0xf1ff
	v_add_co_ci_u32_e64 v51, s0, s7, v51, s0
	global_store_b128 v[50:51], v[8:11], off
	v_mul_f64_e32 v[10:11], s[2:3], v[18:19]
	v_add_co_u32 v50, s0, v50, s6
	s_wait_alu 0xf1ff
	v_add_co_ci_u32_e64 v51, s0, s7, v51, s0
	v_mul_f64_e32 v[18:19], s[2:3], v[26:27]
	v_mul_f64_e32 v[26:27], s[2:3], v[34:35]
	;; [unrolled: 1-line block ×4, first 2 shown]
	s_wait_dscnt 0x0
	v_mul_f64_e32 v[52:53], v[56:57], v[6:7]
	v_mul_f64_e32 v[8:9], v[56:57], v[4:5]
	v_add_co_u32 v56, s0, v50, s6
	s_wait_alu 0xf1ff
	v_add_co_ci_u32_e64 v57, s0, s7, v51, s0
	s_delay_alu instid0(VALU_DEP_2) | instskip(SKIP_1) | instid1(VALU_DEP_2)
	v_add_co_u32 v58, s0, v56, s6
	s_wait_alu 0xf1ff
	v_add_co_ci_u32_e64 v59, s0, s7, v57, s0
	s_delay_alu instid0(VALU_DEP_2) | instskip(SKIP_1) | instid1(VALU_DEP_2)
	;; [unrolled: 4-line block ×3, first 2 shown]
	v_add_co_u32 v0, s0, v60, s6
	s_wait_alu 0xf1ff
	v_add_co_ci_u32_e64 v1, s0, s7, v61, s0
	v_fma_f64 v[52:53], v[54:55], v[4:5], v[52:53]
	v_fma_f64 v[54:55], v[54:55], v[6:7], -v[8:9]
	v_mul_f64_e32 v[4:5], s[2:3], v[12:13]
	v_mul_f64_e32 v[6:7], s[2:3], v[14:15]
	;; [unrolled: 1-line block ×17, first 2 shown]
	global_store_b128 v[50:51], v[4:7], off
	v_add_co_u32 v4, s0, v0, s6
	s_wait_alu 0xf1ff
	v_add_co_ci_u32_e64 v5, s0, s7, v1, s0
	global_store_b128 v[56:57], v[8:11], off
	v_add_co_u32 v6, s0, v4, s6
	s_wait_alu 0xf1ff
	v_add_co_ci_u32_e64 v7, s0, s7, v5, s0
	;; [unrolled: 4-line block ×6, first 2 shown]
	global_store_b128 v[6:7], v[28:31], off
	global_store_b128 v[8:9], v[32:35], off
	;; [unrolled: 1-line block ×5, first 2 shown]
	s_and_b32 exec_lo, exec_lo, vcc_lo
	s_cbranch_execz .LBB0_15
; %bb.14:
	scratch_load_b64 v[18:19], off, off offset:4 th:TH_LOAD_LU ; 8-byte Folded Reload
	ds_load_b128 v[8:11], v157 offset:208
	v_mad_co_u64_u32 v[0:1], null, 0xffffee10, s4, v[0:1]
	s_mul_i32 s0, s5, 0xffffee10
	s_wait_alu 0xfffe
	s_sub_co_i32 s0, s0, s4
	s_wait_alu 0xfffe
	s_delay_alu instid0(VALU_DEP_1)
	v_add_nc_u32_e32 v1, s0, v1
	s_wait_loadcnt 0x0
	global_load_b128 v[4:7], v[18:19], off offset:208
	s_wait_loadcnt_dscnt 0x0
	v_mul_f64_e32 v[12:13], v[10:11], v[6:7]
	v_mul_f64_e32 v[6:7], v[8:9], v[6:7]
	s_delay_alu instid0(VALU_DEP_2) | instskip(NEXT) | instid1(VALU_DEP_2)
	v_fma_f64 v[8:9], v[8:9], v[4:5], v[12:13]
	v_fma_f64 v[6:7], v[4:5], v[10:11], -v[6:7]
	s_delay_alu instid0(VALU_DEP_2) | instskip(NEXT) | instid1(VALU_DEP_2)
	v_mul_f64_e32 v[4:5], s[2:3], v[8:9]
	v_mul_f64_e32 v[6:7], s[2:3], v[6:7]
	global_store_b128 v[0:1], v[4:7], off
	global_load_b128 v[4:7], v[18:19], off offset:608
	ds_load_b128 v[8:11], v156 offset:608
	ds_load_b128 v[12:15], v156 offset:1008
	v_add_co_u32 v0, vcc_lo, v0, s6
	s_wait_alu 0xfffd
	v_add_co_ci_u32_e32 v1, vcc_lo, s7, v1, vcc_lo
	s_wait_loadcnt_dscnt 0x1
	v_mul_f64_e32 v[16:17], v[10:11], v[6:7]
	v_mul_f64_e32 v[6:7], v[8:9], v[6:7]
	s_delay_alu instid0(VALU_DEP_2) | instskip(NEXT) | instid1(VALU_DEP_2)
	v_fma_f64 v[8:9], v[8:9], v[4:5], v[16:17]
	v_fma_f64 v[6:7], v[4:5], v[10:11], -v[6:7]
	s_delay_alu instid0(VALU_DEP_2) | instskip(NEXT) | instid1(VALU_DEP_2)
	v_mul_f64_e32 v[4:5], s[2:3], v[8:9]
	v_mul_f64_e32 v[6:7], s[2:3], v[6:7]
	global_store_b128 v[0:1], v[4:7], off
	global_load_b128 v[4:7], v[18:19], off offset:1008
	v_add_co_u32 v0, vcc_lo, v0, s6
	s_wait_alu 0xfffd
	v_add_co_ci_u32_e32 v1, vcc_lo, s7, v1, vcc_lo
	s_wait_loadcnt_dscnt 0x0
	v_mul_f64_e32 v[8:9], v[14:15], v[6:7]
	v_mul_f64_e32 v[6:7], v[12:13], v[6:7]
	s_delay_alu instid0(VALU_DEP_2) | instskip(NEXT) | instid1(VALU_DEP_2)
	v_fma_f64 v[8:9], v[12:13], v[4:5], v[8:9]
	v_fma_f64 v[6:7], v[4:5], v[14:15], -v[6:7]
	s_delay_alu instid0(VALU_DEP_2) | instskip(NEXT) | instid1(VALU_DEP_2)
	v_mul_f64_e32 v[4:5], s[2:3], v[8:9]
	v_mul_f64_e32 v[6:7], s[2:3], v[6:7]
	global_store_b128 v[0:1], v[4:7], off
	global_load_b128 v[4:7], v[18:19], off offset:1408
	ds_load_b128 v[8:11], v156 offset:1408
	ds_load_b128 v[12:15], v156 offset:1808
	v_add_co_u32 v0, vcc_lo, v0, s6
	s_wait_alu 0xfffd
	v_add_co_ci_u32_e32 v1, vcc_lo, s7, v1, vcc_lo
	s_wait_loadcnt_dscnt 0x1
	v_mul_f64_e32 v[16:17], v[10:11], v[6:7]
	v_mul_f64_e32 v[6:7], v[8:9], v[6:7]
	s_delay_alu instid0(VALU_DEP_2) | instskip(NEXT) | instid1(VALU_DEP_2)
	v_fma_f64 v[8:9], v[8:9], v[4:5], v[16:17]
	v_fma_f64 v[6:7], v[4:5], v[10:11], -v[6:7]
	s_delay_alu instid0(VALU_DEP_2) | instskip(NEXT) | instid1(VALU_DEP_2)
	v_mul_f64_e32 v[4:5], s[2:3], v[8:9]
	v_mul_f64_e32 v[6:7], s[2:3], v[6:7]
	global_store_b128 v[0:1], v[4:7], off
	global_load_b128 v[4:7], v[18:19], off offset:1808
	v_add_co_u32 v0, vcc_lo, v0, s6
	s_wait_alu 0xfffd
	v_add_co_ci_u32_e32 v1, vcc_lo, s7, v1, vcc_lo
	;; [unrolled: 30-line block ×4, first 2 shown]
	s_wait_loadcnt_dscnt 0x0
	v_mul_f64_e32 v[8:9], v[14:15], v[6:7]
	v_mul_f64_e32 v[6:7], v[12:13], v[6:7]
	s_delay_alu instid0(VALU_DEP_2) | instskip(NEXT) | instid1(VALU_DEP_2)
	v_fma_f64 v[8:9], v[12:13], v[4:5], v[8:9]
	v_fma_f64 v[6:7], v[4:5], v[14:15], -v[6:7]
	s_delay_alu instid0(VALU_DEP_2) | instskip(NEXT) | instid1(VALU_DEP_2)
	v_mul_f64_e32 v[4:5], s[2:3], v[8:9]
	v_mul_f64_e32 v[6:7], s[2:3], v[6:7]
	global_store_b128 v[0:1], v[4:7], off
	global_load_b128 v[4:7], v[18:19], off offset:3808
	ds_load_b128 v[8:11], v156 offset:3808
	ds_load_b128 v[12:15], v156 offset:4208
	v_add_co_u32 v0, vcc_lo, v0, s6
	s_wait_alu 0xfffd
	v_add_co_ci_u32_e32 v1, vcc_lo, s7, v1, vcc_lo
	s_wait_loadcnt_dscnt 0x1
	v_mul_f64_e32 v[16:17], v[10:11], v[6:7]
	v_mul_f64_e32 v[6:7], v[8:9], v[6:7]
	s_delay_alu instid0(VALU_DEP_2) | instskip(NEXT) | instid1(VALU_DEP_2)
	v_fma_f64 v[8:9], v[8:9], v[4:5], v[16:17]
	v_fma_f64 v[6:7], v[4:5], v[10:11], -v[6:7]
	v_add_co_u32 v16, vcc_lo, v0, s6
	s_wait_alu 0xfffd
	v_add_co_ci_u32_e32 v17, vcc_lo, s7, v1, vcc_lo
	s_delay_alu instid0(VALU_DEP_4) | instskip(NEXT) | instid1(VALU_DEP_4)
	v_mul_f64_e32 v[4:5], s[2:3], v[8:9]
	v_mul_f64_e32 v[6:7], s[2:3], v[6:7]
	global_store_b128 v[0:1], v[4:7], off
	global_load_b128 v[4:7], v[18:19], off offset:4208
	s_wait_loadcnt_dscnt 0x0
	v_mul_f64_e32 v[8:9], v[14:15], v[6:7]
	v_mul_f64_e32 v[6:7], v[12:13], v[6:7]
	s_delay_alu instid0(VALU_DEP_2) | instskip(NEXT) | instid1(VALU_DEP_2)
	v_fma_f64 v[8:9], v[12:13], v[4:5], v[8:9]
	v_fma_f64 v[6:7], v[4:5], v[14:15], -v[6:7]
	s_delay_alu instid0(VALU_DEP_2) | instskip(NEXT) | instid1(VALU_DEP_2)
	v_mul_f64_e32 v[4:5], s[2:3], v[8:9]
	v_mul_f64_e32 v[6:7], s[2:3], v[6:7]
	global_store_b128 v[16:17], v[4:7], off
	global_load_b128 v[4:7], v[18:19], off offset:4608
	ds_load_b128 v[8:11], v156 offset:4608
	ds_load_b128 v[12:15], v156 offset:5008
	s_wait_loadcnt_dscnt 0x1
	v_mul_f64_e32 v[0:1], v[10:11], v[6:7]
	v_mul_f64_e32 v[6:7], v[8:9], v[6:7]
	s_delay_alu instid0(VALU_DEP_2) | instskip(NEXT) | instid1(VALU_DEP_2)
	v_fma_f64 v[0:1], v[8:9], v[4:5], v[0:1]
	v_fma_f64 v[6:7], v[4:5], v[10:11], -v[6:7]
	scratch_load_b32 v10, off, off offset:556 th:TH_LOAD_LU ; 4-byte Folded Reload
	v_mul_f64_e32 v[4:5], s[2:3], v[0:1]
	v_mul_f64_e32 v[6:7], s[2:3], v[6:7]
	s_wait_loadcnt 0x0
	v_mad_co_u64_u32 v[8:9], null, s4, v10, 0
	s_delay_alu instid0(VALU_DEP_1) | instskip(NEXT) | instid1(VALU_DEP_1)
	v_mov_b32_e32 v0, v9
	v_mad_co_u64_u32 v[0:1], null, s5, v10, v[0:1]
	s_delay_alu instid0(VALU_DEP_1) | instskip(NEXT) | instid1(VALU_DEP_1)
	v_mov_b32_e32 v9, v0
	v_lshlrev_b64_e32 v[0:1], 4, v[8:9]
	s_delay_alu instid0(VALU_DEP_1) | instskip(SKIP_1) | instid1(VALU_DEP_2)
	v_add_co_u32 v0, vcc_lo, v2, v0
	s_wait_alu 0xfffd
	v_add_co_ci_u32_e32 v1, vcc_lo, v3, v1, vcc_lo
	global_store_b128 v[0:1], v[4:7], off
	global_load_b128 v[0:3], v[18:19], off offset:5008
	s_wait_loadcnt_dscnt 0x0
	v_mul_f64_e32 v[4:5], v[14:15], v[2:3]
	v_mul_f64_e32 v[2:3], v[12:13], v[2:3]
	s_delay_alu instid0(VALU_DEP_2) | instskip(NEXT) | instid1(VALU_DEP_2)
	v_fma_f64 v[4:5], v[12:13], v[0:1], v[4:5]
	v_fma_f64 v[2:3], v[0:1], v[14:15], -v[2:3]
	s_delay_alu instid0(VALU_DEP_2) | instskip(NEXT) | instid1(VALU_DEP_2)
	v_mul_f64_e32 v[0:1], s[2:3], v[4:5]
	v_mul_f64_e32 v[2:3], s[2:3], v[2:3]
	v_mad_co_u64_u32 v[4:5], null, 0x320, s4, v[16:17]
	s_delay_alu instid0(VALU_DEP_1)
	v_mad_co_u64_u32 v[5:6], null, 0x320, s5, v[5:6]
	global_store_b128 v[4:5], v[0:3], off
.LBB0_15:
	s_nop 0
	s_sendmsg sendmsg(MSG_DEALLOC_VGPRS)
	s_endpgm
	.section	.rodata,"a",@progbits
	.p2align	6, 0x0
	.amdhsa_kernel bluestein_single_back_len325_dim1_dp_op_CI_CI
		.amdhsa_group_segment_fixed_size 20800
		.amdhsa_private_segment_fixed_size 572
		.amdhsa_kernarg_size 104
		.amdhsa_user_sgpr_count 2
		.amdhsa_user_sgpr_dispatch_ptr 0
		.amdhsa_user_sgpr_queue_ptr 0
		.amdhsa_user_sgpr_kernarg_segment_ptr 1
		.amdhsa_user_sgpr_dispatch_id 0
		.amdhsa_user_sgpr_private_segment_size 0
		.amdhsa_wavefront_size32 1
		.amdhsa_uses_dynamic_stack 0
		.amdhsa_enable_private_segment 1
		.amdhsa_system_sgpr_workgroup_id_x 1
		.amdhsa_system_sgpr_workgroup_id_y 0
		.amdhsa_system_sgpr_workgroup_id_z 0
		.amdhsa_system_sgpr_workgroup_info 0
		.amdhsa_system_vgpr_workitem_id 0
		.amdhsa_next_free_vgpr 256
		.amdhsa_next_free_sgpr 48
		.amdhsa_reserve_vcc 1
		.amdhsa_float_round_mode_32 0
		.amdhsa_float_round_mode_16_64 0
		.amdhsa_float_denorm_mode_32 3
		.amdhsa_float_denorm_mode_16_64 3
		.amdhsa_fp16_overflow 0
		.amdhsa_workgroup_processor_mode 1
		.amdhsa_memory_ordered 1
		.amdhsa_forward_progress 0
		.amdhsa_round_robin_scheduling 0
		.amdhsa_exception_fp_ieee_invalid_op 0
		.amdhsa_exception_fp_denorm_src 0
		.amdhsa_exception_fp_ieee_div_zero 0
		.amdhsa_exception_fp_ieee_overflow 0
		.amdhsa_exception_fp_ieee_underflow 0
		.amdhsa_exception_fp_ieee_inexact 0
		.amdhsa_exception_int_div_zero 0
	.end_amdhsa_kernel
	.text
.Lfunc_end0:
	.size	bluestein_single_back_len325_dim1_dp_op_CI_CI, .Lfunc_end0-bluestein_single_back_len325_dim1_dp_op_CI_CI
                                        ; -- End function
	.section	.AMDGPU.csdata,"",@progbits
; Kernel info:
; codeLenInByte = 33300
; NumSgprs: 50
; NumVgprs: 256
; ScratchSize: 572
; MemoryBound: 0
; FloatMode: 240
; IeeeMode: 1
; LDSByteSize: 20800 bytes/workgroup (compile time only)
; SGPRBlocks: 6
; VGPRBlocks: 31
; NumSGPRsForWavesPerEU: 50
; NumVGPRsForWavesPerEU: 256
; Occupancy: 3
; WaveLimiterHint : 1
; COMPUTE_PGM_RSRC2:SCRATCH_EN: 1
; COMPUTE_PGM_RSRC2:USER_SGPR: 2
; COMPUTE_PGM_RSRC2:TRAP_HANDLER: 0
; COMPUTE_PGM_RSRC2:TGID_X_EN: 1
; COMPUTE_PGM_RSRC2:TGID_Y_EN: 0
; COMPUTE_PGM_RSRC2:TGID_Z_EN: 0
; COMPUTE_PGM_RSRC2:TIDIG_COMP_CNT: 0
	.text
	.p2alignl 7, 3214868480
	.fill 96, 4, 3214868480
	.type	__hip_cuid_a65ea15c72c70b74,@object ; @__hip_cuid_a65ea15c72c70b74
	.section	.bss,"aw",@nobits
	.globl	__hip_cuid_a65ea15c72c70b74
__hip_cuid_a65ea15c72c70b74:
	.byte	0                               ; 0x0
	.size	__hip_cuid_a65ea15c72c70b74, 1

	.ident	"AMD clang version 19.0.0git (https://github.com/RadeonOpenCompute/llvm-project roc-6.4.0 25133 c7fe45cf4b819c5991fe208aaa96edf142730f1d)"
	.section	".note.GNU-stack","",@progbits
	.addrsig
	.addrsig_sym __hip_cuid_a65ea15c72c70b74
	.amdgpu_metadata
---
amdhsa.kernels:
  - .args:
      - .actual_access:  read_only
        .address_space:  global
        .offset:         0
        .size:           8
        .value_kind:     global_buffer
      - .actual_access:  read_only
        .address_space:  global
        .offset:         8
        .size:           8
        .value_kind:     global_buffer
      - .actual_access:  read_only
        .address_space:  global
        .offset:         16
        .size:           8
        .value_kind:     global_buffer
      - .actual_access:  read_only
        .address_space:  global
        .offset:         24
        .size:           8
        .value_kind:     global_buffer
      - .actual_access:  read_only
        .address_space:  global
        .offset:         32
        .size:           8
        .value_kind:     global_buffer
      - .offset:         40
        .size:           8
        .value_kind:     by_value
      - .address_space:  global
        .offset:         48
        .size:           8
        .value_kind:     global_buffer
      - .address_space:  global
        .offset:         56
        .size:           8
        .value_kind:     global_buffer
      - .address_space:  global
        .offset:         64
        .size:           8
        .value_kind:     global_buffer
      - .address_space:  global
        .offset:         72
        .size:           8
        .value_kind:     global_buffer
      - .offset:         80
        .size:           4
        .value_kind:     by_value
      - .address_space:  global
        .offset:         88
        .size:           8
        .value_kind:     global_buffer
      - .address_space:  global
        .offset:         96
        .size:           8
        .value_kind:     global_buffer
    .group_segment_fixed_size: 20800
    .kernarg_segment_align: 8
    .kernarg_segment_size: 104
    .language:       OpenCL C
    .language_version:
      - 2
      - 0
    .max_flat_workgroup_size: 52
    .name:           bluestein_single_back_len325_dim1_dp_op_CI_CI
    .private_segment_fixed_size: 572
    .sgpr_count:     50
    .sgpr_spill_count: 0
    .symbol:         bluestein_single_back_len325_dim1_dp_op_CI_CI.kd
    .uniform_work_group_size: 1
    .uses_dynamic_stack: false
    .vgpr_count:     256
    .vgpr_spill_count: 146
    .wavefront_size: 32
    .workgroup_processor_mode: 1
amdhsa.target:   amdgcn-amd-amdhsa--gfx1201
amdhsa.version:
  - 1
  - 2
...

	.end_amdgpu_metadata
